;; amdgpu-corpus repo=ROCm/rocFFT kind=compiled arch=gfx906 opt=O3
	.text
	.amdgcn_target "amdgcn-amd-amdhsa--gfx906"
	.amdhsa_code_object_version 6
	.protected	bluestein_single_fwd_len2304_dim1_half_op_CI_CI ; -- Begin function bluestein_single_fwd_len2304_dim1_half_op_CI_CI
	.globl	bluestein_single_fwd_len2304_dim1_half_op_CI_CI
	.p2align	8
	.type	bluestein_single_fwd_len2304_dim1_half_op_CI_CI,@function
bluestein_single_fwd_len2304_dim1_half_op_CI_CI: ; @bluestein_single_fwd_len2304_dim1_half_op_CI_CI
; %bb.0:
	s_load_dwordx4 s[16:19], s[4:5], 0x28
	v_mul_u32_u24_e32 v1, 0x156, v0
	v_add_u32_sdwa v35, s6, v1 dst_sel:DWORD dst_unused:UNUSED_PAD src0_sel:DWORD src1_sel:WORD_1
	v_mov_b32_e32 v36, 0
	s_waitcnt lgkmcnt(0)
	v_cmp_gt_u64_e32 vcc, s[16:17], v[35:36]
	s_and_saveexec_b64 s[0:1], vcc
	s_cbranch_execz .LBB0_2
; %bb.1:
	s_load_dwordx4 s[8:11], s[4:5], 0x18
	s_load_dwordx4 s[0:3], s[4:5], 0x0
	s_movk_i32 s16, 0xc0
	v_mul_lo_u16_sdwa v1, v1, s16 dst_sel:DWORD dst_unused:UNUSED_PAD src0_sel:WORD_1 src1_sel:DWORD
	v_sub_u16_e32 v51, v0, v1
	s_waitcnt lgkmcnt(0)
	s_load_dwordx4 s[12:15], s[8:9], 0x0
	v_lshlrev_b32_e32 v43, 2, v51
	v_or_b32_e32 v48, 0x300, v51
	v_or_b32_e32 v45, 0x600, v51
	global_load_dword v53, v43, s[0:1]
	global_load_dword v52, v43, s[0:1] offset:1536
	s_waitcnt lgkmcnt(0)
	v_mad_u64_u32 v[0:1], s[6:7], s14, v35, 0
	v_mad_u64_u32 v[2:3], s[6:7], s12, v51, 0
	s_mul_i32 s14, s13, 0x600
	v_mov_b32_e32 v41, 0xc00
	v_mad_u64_u32 v[4:5], s[6:7], s15, v35, v[1:2]
	s_mul_hi_u32 s15, s12, 0x600
	v_lshlrev_b32_e32 v54, 2, v45
	v_mad_u64_u32 v[5:6], s[6:7], s13, v51, v[3:4]
	v_mov_b32_e32 v1, v4
	v_lshlrev_b64 v[0:1], 2, v[0:1]
	v_mov_b32_e32 v3, v5
	v_mov_b32_e32 v4, s19
	v_add_co_u32_e32 v6, vcc, s18, v0
	v_addc_co_u32_e32 v7, vcc, v4, v1, vcc
	v_lshlrev_b64 v[0:1], 2, v[2:3]
	v_mov_b32_e32 v2, s1
	v_add_co_u32_e32 v0, vcc, v6, v0
	v_addc_co_u32_e32 v1, vcc, v7, v1, vcc
	v_add_co_u32_e32 v9, vcc, s0, v43
	v_addc_co_u32_e32 v10, vcc, 0, v2, vcc
	v_mad_u64_u32 v[2:3], s[8:9], s12, v48, 0
	s_add_u32 s6, s0, 0x2400
	s_addc_u32 s7, s1, 0
	s_add_i32 s8, s15, s14
	v_mad_u64_u32 v[3:4], s[14:15], s13, v48, v[3:4]
	s_mul_i32 s9, s12, 0x600
	global_load_dword v8, v[0:1], off
	v_mov_b32_e32 v5, s8
	v_add_co_u32_e32 v0, vcc, s9, v0
	v_lshlrev_b64 v[2:3], 2, v[2:3]
	v_addc_co_u32_e32 v1, vcc, v1, v5, vcc
	v_add_co_u32_e32 v2, vcc, v6, v2
	v_addc_co_u32_e32 v3, vcc, v7, v3, vcc
	global_load_dword v11, v[0:1], off
	global_load_dword v12, v[2:3], off
	global_load_dword v50, v43, s[0:1] offset:3072
	v_mad_u64_u32 v[2:3], s[14:15], s12, v45, 0
	v_mad_u64_u32 v[0:1], s[14:15], s12, v41, v[0:1]
	v_mad_u64_u32 v[3:4], s[18:19], s13, v45, v[3:4]
	s_movk_i32 s14, 0x1000
	s_mul_i32 s15, s13, 0xc00
	v_add_co_u32_e32 v4, vcc, s14, v9
	v_lshlrev_b64 v[2:3], 2, v[2:3]
	v_add_u32_e32 v1, s15, v1
	v_addc_co_u32_e32 v5, vcc, 0, v10, vcc
	global_load_dword v13, v[0:1], off
	v_add_co_u32_e32 v2, vcc, v6, v2
	global_load_dword v49, v[4:5], off offset:512
	global_load_dword v46, v[4:5], off offset:3584
	v_addc_co_u32_e32 v3, vcc, v7, v3, vcc
	global_load_dword v6, v[2:3], off
	v_mad_u64_u32 v[0:1], s[18:19], s12, v41, v[0:1]
	global_load_dword v47, v54, s[0:1]
	v_mov_b32_e32 v40, 0xffffe500
	v_add_u32_e32 v1, s15, v1
	v_mad_u64_u32 v[2:3], s[18:19], s12, v40, v[0:1]
	global_load_dword v7, v[0:1], off
	s_mulk_i32 s13, 0xe500
	s_sub_i32 s12, s13, s12
	v_add_u32_e32 v3, s12, v3
	global_load_dword v14, v[2:3], off
	global_load_dword v39, v43, s[0:1] offset:3840
	global_load_dword v42, v43, s[0:1] offset:2304
	;; [unrolled: 1-line block ×3, first 2 shown]
	v_mov_b32_e32 v1, s8
	v_add_co_u32_e32 v0, vcc, s9, v2
	v_addc_co_u32_e32 v1, vcc, v3, v1, vcc
	global_load_dword v15, v[0:1], off
	v_mov_b32_e32 v2, s8
	v_add_co_u32_e32 v0, vcc, s9, v0
	v_addc_co_u32_e32 v1, vcc, v1, v2, vcc
	global_load_dword v16, v[0:1], off
	v_add_co_u32_e32 v0, vcc, s9, v0
	v_addc_co_u32_e32 v1, vcc, v1, v2, vcc
	global_load_dword v17, v[0:1], off
	global_load_dword v38, v[4:5], off offset:1280
	v_add_co_u32_e32 v0, vcc, s9, v0
	v_addc_co_u32_e32 v1, vcc, v1, v2, vcc
	v_mov_b32_e32 v3, s8
	v_add_co_u32_e32 v2, vcc, s9, v0
	v_addc_co_u32_e32 v3, vcc, v1, v3, vcc
	global_load_dword v18, v[0:1], off
	global_load_dword v37, v[4:5], off offset:2816
	global_load_dword v19, v[2:3], off
	s_movk_i32 s12, 0x2000
	v_add_co_u32_e32 v0, vcc, s12, v9
	v_addc_co_u32_e32 v1, vcc, 0, v10, vcc
	global_load_dword v36, v[0:1], off offset:256
	s_waitcnt vmcnt(21)
	v_lshrrev_b32_e32 v0, 16, v8
	v_mul_f16_sdwa v1, v53, v0 dst_sel:DWORD dst_unused:UNUSED_PAD src0_sel:WORD_1 src1_sel:DWORD
	v_mul_f16_sdwa v2, v53, v8 dst_sel:DWORD dst_unused:UNUSED_PAD src0_sel:WORD_1 src1_sel:DWORD
	v_fma_f16 v1, v53, v8, v1
	v_fma_f16 v0, v53, v0, -v2
	v_pack_b32_f16 v0, v1, v0
	s_load_dwordx4 s[8:11], s[10:11], 0x0
	s_movk_i32 s0, 0x3aee
	s_waitcnt vmcnt(20)
	v_lshrrev_b32_e32 v1, 16, v11
	v_mul_f16_sdwa v2, v52, v1 dst_sel:DWORD dst_unused:UNUSED_PAD src0_sel:WORD_1 src1_sel:DWORD
	v_mul_f16_sdwa v3, v52, v11 dst_sel:DWORD dst_unused:UNUSED_PAD src0_sel:WORD_1 src1_sel:DWORD
	v_fma_f16 v2, v52, v11, v2
	v_fma_f16 v1, v52, v1, -v3
	v_pack_b32_f16 v1, v2, v1
	ds_write_b32 v43, v1 offset:1536
	s_waitcnt vmcnt(19)
	v_lshrrev_b32_e32 v1, 16, v12
	s_waitcnt vmcnt(18)
	v_mul_f16_sdwa v2, v50, v1 dst_sel:DWORD dst_unused:UNUSED_PAD src0_sel:WORD_1 src1_sel:DWORD
	v_mul_f16_sdwa v3, v50, v12 dst_sel:DWORD dst_unused:UNUSED_PAD src0_sel:WORD_1 src1_sel:DWORD
	v_fma_f16 v2, v50, v12, v2
	v_fma_f16 v1, v50, v1, -v3
	v_pack_b32_f16 v1, v2, v1
	ds_write_b32 v43, v1 offset:3072
	s_mov_b32 s1, 0xffff
	s_mov_b32 s13, 0xbaee3aee
	v_mov_b32_e32 v21, s3
	s_waitcnt vmcnt(17)
	v_lshrrev_b32_e32 v1, 16, v13
	s_mov_b32 s15, 0xe38f
	s_load_dwordx2 s[4:5], s[4:5], 0x38
	s_waitcnt vmcnt(16)
	v_mul_f16_sdwa v2, v49, v1 dst_sel:DWORD dst_unused:UNUSED_PAD src0_sel:WORD_1 src1_sel:DWORD
	v_mul_f16_sdwa v3, v49, v13 dst_sel:DWORD dst_unused:UNUSED_PAD src0_sel:WORD_1 src1_sel:DWORD
	v_fma_f16 v2, v49, v13, v2
	v_fma_f16 v1, v49, v1, -v3
	v_pack_b32_f16 v1, v2, v1
	ds_write_b32 v43, v1 offset:4608
	s_waitcnt vmcnt(14)
	v_lshrrev_b32_e32 v1, 16, v6
	s_waitcnt vmcnt(13)
	v_mul_f16_sdwa v2, v47, v1 dst_sel:DWORD dst_unused:UNUSED_PAD src0_sel:WORD_1 src1_sel:DWORD
	v_mul_f16_sdwa v3, v47, v6 dst_sel:DWORD dst_unused:UNUSED_PAD src0_sel:WORD_1 src1_sel:DWORD
	v_fma_f16 v2, v47, v6, v2
	v_fma_f16 v1, v47, v1, -v3
	v_pack_b32_f16 v1, v2, v1
	ds_write_b32 v43, v1 offset:6144
	s_waitcnt vmcnt(12)
	v_lshrrev_b32_e32 v1, 16, v7
	v_mul_f16_sdwa v2, v46, v1 dst_sel:DWORD dst_unused:UNUSED_PAD src0_sel:WORD_1 src1_sel:DWORD
	v_mul_f16_sdwa v3, v46, v7 dst_sel:DWORD dst_unused:UNUSED_PAD src0_sel:WORD_1 src1_sel:DWORD
	v_fma_f16 v2, v46, v7, v2
	v_fma_f16 v1, v46, v1, -v3
	v_pack_b32_f16 v1, v2, v1
	ds_write_b32 v43, v1 offset:7680
	s_waitcnt vmcnt(11)
	v_lshrrev_b32_e32 v1, 16, v14
	s_waitcnt vmcnt(8)
	v_mul_f16_sdwa v2, v44, v1 dst_sel:DWORD dst_unused:UNUSED_PAD src0_sel:WORD_1 src1_sel:DWORD
	v_mul_f16_sdwa v3, v44, v14 dst_sel:DWORD dst_unused:UNUSED_PAD src0_sel:WORD_1 src1_sel:DWORD
	v_fma_f16 v2, v44, v14, v2
	v_fma_f16 v1, v44, v1, -v3
	v_pack_b32_f16 v1, v2, v1
	ds_write2st64_b32 v43, v0, v1 offset1:3
	s_waitcnt vmcnt(7)
	v_lshrrev_b32_e32 v0, 16, v15
	v_mul_f16_sdwa v1, v42, v0 dst_sel:DWORD dst_unused:UNUSED_PAD src0_sel:WORD_1 src1_sel:DWORD
	v_mul_f16_sdwa v2, v42, v15 dst_sel:DWORD dst_unused:UNUSED_PAD src0_sel:WORD_1 src1_sel:DWORD
	v_fma_f16 v1, v42, v15, v1
	v_fma_f16 v0, v42, v0, -v2
	v_pack_b32_f16 v0, v1, v0
	ds_write_b32 v43, v0 offset:2304
	s_waitcnt vmcnt(6)
	v_lshrrev_b32_e32 v0, 16, v16
	v_mul_f16_sdwa v1, v39, v0 dst_sel:DWORD dst_unused:UNUSED_PAD src0_sel:WORD_1 src1_sel:DWORD
	v_mul_f16_sdwa v2, v39, v16 dst_sel:DWORD dst_unused:UNUSED_PAD src0_sel:WORD_1 src1_sel:DWORD
	v_fma_f16 v1, v39, v16, v1
	v_fma_f16 v0, v39, v0, -v2
	v_pack_b32_f16 v0, v1, v0
	ds_write_b32 v43, v0 offset:3840
	s_waitcnt vmcnt(5)
	v_lshrrev_b32_e32 v0, 16, v17
	s_waitcnt vmcnt(4)
	v_mul_f16_sdwa v1, v38, v0 dst_sel:DWORD dst_unused:UNUSED_PAD src0_sel:WORD_1 src1_sel:DWORD
	v_mul_f16_sdwa v2, v38, v17 dst_sel:DWORD dst_unused:UNUSED_PAD src0_sel:WORD_1 src1_sel:DWORD
	v_fma_f16 v1, v38, v17, v1
	v_fma_f16 v0, v38, v0, -v2
	v_pack_b32_f16 v0, v1, v0
	ds_write_b32 v43, v0 offset:5376
	s_waitcnt vmcnt(3)
	v_lshrrev_b32_e32 v0, 16, v18
	s_waitcnt vmcnt(2)
	;; [unrolled: 9-line block ×3, first 2 shown]
	v_mul_f16_sdwa v1, v36, v0 dst_sel:DWORD dst_unused:UNUSED_PAD src0_sel:WORD_1 src1_sel:DWORD
	v_mul_f16_sdwa v2, v36, v19 dst_sel:DWORD dst_unused:UNUSED_PAD src0_sel:WORD_1 src1_sel:DWORD
	v_fma_f16 v1, v36, v19, v1
	v_fma_f16 v0, v36, v0, -v2
	v_pack_b32_f16 v0, v1, v0
	ds_write_b32 v43, v0 offset:8448
	s_waitcnt lgkmcnt(0)
	s_barrier
	ds_read2st64_b32 v[0:1], v43 offset0:12 offset1:15
	ds_read2st64_b32 v[2:3], v43 offset0:24 offset1:27
	ds_read2st64_b32 v[4:5], v43 offset1:3
	ds_read2st64_b32 v[6:7], v43 offset0:6 offset1:9
	ds_read2st64_b32 v[8:9], v43 offset0:18 offset1:21
	;; [unrolled: 1-line block ×3, first 2 shown]
	s_waitcnt lgkmcnt(4)
	v_pk_add_f16 v12, v0, v2
	v_pk_add_f16 v13, v0, v2 neg_lo:[0,1] neg_hi:[0,1]
	s_waitcnt lgkmcnt(3)
	v_pk_fma_f16 v12, v12, 0.5, v4 op_sel_hi:[1,0,1] neg_lo:[1,0,0] neg_hi:[1,0,0]
	v_pk_mul_f16 v13, v13, s0 op_sel_hi:[1,0]
	v_pk_add_f16 v16, v12, v13 op_sel:[0,1] op_sel_hi:[1,0]
	v_pk_add_f16 v17, v12, v13 op_sel:[0,1] op_sel_hi:[1,0] neg_lo:[0,1] neg_hi:[0,1]
	s_waitcnt lgkmcnt(0)
	v_pk_add_f16 v12, v8, v10
	v_pk_fma_f16 v12, v12, 0.5, v6 op_sel_hi:[1,0,1] neg_lo:[1,0,0] neg_hi:[1,0,0]
	v_pk_add_f16 v13, v8, v10 neg_lo:[0,1] neg_hi:[0,1]
	v_pk_fma_f16 v14, v13, s0, v12 op_sel:[0,0,1] op_sel_hi:[1,0,0]
	v_pk_fma_f16 v12, v13, s0, v12 op_sel:[0,0,1] op_sel_hi:[1,0,0] neg_lo:[1,0,0] neg_hi:[1,0,0]
	v_lshrrev_b32_e32 v13, 16, v14
	v_mul_f16_e32 v15, 0x3aee, v12
	v_pk_add_f16 v0, v4, v0
	v_bfi_b32 v14, s1, v14, v12
	v_fma_f16 v18, v13, 0.5, v15
	v_mul_f16_e32 v13, 0xbaee, v13
	v_pk_add_f16 v0, v0, v2
	v_pk_add_f16 v2, v6, v8
	v_fma_f16 v19, v12, 0.5, v13
	v_pk_mul_f16 v12, v14, 0.5 op_sel_hi:[1,0]
	v_pk_add_f16 v2, v2, v10
	v_pk_fma_f16 v20, v14, s13, v12 op_sel:[0,0,1] op_sel_hi:[1,1,0] neg_lo:[0,0,1] neg_hi:[0,0,1]
	v_pk_add_f16 v12, v0, v2
	v_pk_add_f16 v15, v0, v2 neg_lo:[0,1] neg_hi:[0,1]
	v_bfi_b32 v0, s1, v17, v16
	v_add_f16_e32 v4, v16, v18
	v_add_f16_sdwa v6, v17, v19 dst_sel:DWORD dst_unused:UNUSED_PAD src0_sel:WORD_1 src1_sel:DWORD
	v_pk_add_f16 v14, v0, v20
	v_mul_lo_u16_e32 v0, 6, v51
	v_pack_b32_f16 v13, v4, v6
	v_lshlrev_b32_e32 v57, 2, v0
	v_pk_add_f16 v0, v5, v1
	v_pack_b32_f16 v6, v19, v20
	v_pk_add_f16 v2, v1, v3
	v_pk_add_f16 v4, v1, v3 neg_lo:[0,1] neg_hi:[0,1]
	v_pk_add_f16 v3, v0, v3
	v_sub_f16_e32 v0, v16, v18
	v_sub_f16_sdwa v1, v16, v20 dst_sel:DWORD dst_unused:UNUSED_PAD src0_sel:WORD_1 src1_sel:WORD_1
	v_pk_add_f16 v6, v17, v6 op_sel:[1,0] op_sel_hi:[0,1] neg_lo:[0,1] neg_hi:[0,1]
	v_alignbit_b32 v1, v1, v6, 16
	v_pack_b32_f16 v0, v0, v6
	v_add_co_u32_e32 v20, vcc, s16, v51
	s_barrier
	ds_write_b64 v57, v[0:1] offset:16
	v_mul_u32_u24_e32 v0, 6, v20
	v_lshlrev_b32_e32 v56, 2, v0
	v_pk_add_f16 v0, v7, v9
	v_pk_add_f16 v1, v0, v11
	;; [unrolled: 1-line block ×3, first 2 shown]
	v_pk_fma_f16 v2, v2, 0.5, v5 op_sel_hi:[1,0,1] neg_lo:[1,0,0] neg_hi:[1,0,0]
	v_pk_fma_f16 v5, v0, 0.5, v7 op_sel_hi:[1,0,1] neg_lo:[1,0,0] neg_hi:[1,0,0]
	v_pk_add_f16 v7, v9, v11 neg_lo:[0,1] neg_hi:[0,1]
	v_pk_fma_f16 v8, v7, s0, v5 op_sel:[0,0,1] op_sel_hi:[1,0,0]
	v_pk_fma_f16 v5, v7, s0, v5 op_sel:[0,0,1] op_sel_hi:[1,0,0] neg_lo:[1,0,0] neg_hi:[1,0,0]
	v_lshrrev_b32_e32 v9, 16, v8
	v_bfi_b32 v7, s1, v8, v5
	v_mul_f16_e32 v8, 0x3aee, v5
	v_pk_mul_f16 v4, v4, s0 op_sel_hi:[1,0]
	v_fma_f16 v8, v9, 0.5, v8
	v_mul_f16_e32 v9, 0xbaee, v9
	v_pk_add_f16 v6, v2, v4 op_sel:[0,1] op_sel_hi:[1,0]
	v_pk_add_f16 v4, v2, v4 op_sel:[0,1] op_sel_hi:[1,0] neg_lo:[0,1] neg_hi:[0,1]
	v_fma_f16 v5, v5, 0.5, v9
	v_pk_mul_f16 v9, v7, 0.5 op_sel_hi:[1,0]
	v_bfi_b32 v2, s1, v4, v6
	v_add_f16_e32 v10, v6, v8
	v_pk_fma_f16 v7, v7, s13, v9 op_sel:[0,0,1] op_sel_hi:[1,1,0] neg_lo:[0,0,1] neg_hi:[0,0,1]
	v_add_f16_sdwa v9, v4, v5 dst_sel:DWORD dst_unused:UNUSED_PAD src0_sel:WORD_1 src1_sel:DWORD
	v_pk_add_f16 v0, v3, v1
	v_pk_add_f16 v3, v3, v1 neg_lo:[0,1] neg_hi:[0,1]
	v_pk_add_f16 v2, v2, v7
	v_pack_b32_f16 v1, v10, v9
	ds_write2_b64 v57, v[12:13], v[14:15] offset1:1
	ds_write2_b64 v56, v[0:1], v[2:3] offset1:1
	v_pack_b32_f16 v0, v5, v7
	v_sub_f16_e32 v8, v6, v8
	v_sub_f16_sdwa v6, v6, v7 dst_sel:DWORD dst_unused:UNUSED_PAD src0_sel:WORD_1 src1_sel:WORD_1
	v_pk_add_f16 v0, v4, v0 op_sel:[1,0] op_sel_hi:[0,1] neg_lo:[0,1] neg_hi:[0,1]
	v_alignbit_b32 v1, v6, v0, 16
	v_pack_b32_f16 v0, v8, v0
	s_movk_i32 s13, 0xab
	ds_write_b64 v56, v[0:1] offset:16
	v_mul_lo_u16_sdwa v0, v51, s13 dst_sel:DWORD dst_unused:UNUSED_PAD src0_sel:BYTE_0 src1_sel:DWORD
	v_lshrrev_b16_e32 v19, 10, v0
	v_mul_lo_u16_e32 v0, 6, v19
	v_sub_u16_e32 v0, v51, v0
	v_and_b32_e32 v24, 0xff, v0
	v_mad_u64_u32 v[4:5], s[16:17], v24, 20, s[2:3]
	s_waitcnt lgkmcnt(0)
	s_barrier
	global_load_dwordx4 v[0:3], v[4:5], off
	global_load_dword v55, v[4:5], off offset:16
	ds_read2st64_b32 v[7:8], v43 offset0:12 offset1:15
	ds_read2st64_b32 v[9:10], v43 offset0:24 offset1:27
	ds_read2st64_b32 v[11:12], v43 offset1:3
	s_mov_b32 s13, 0xaaab
	ds_read2st64_b32 v[22:23], v43 offset0:30 offset1:33
	s_waitcnt lgkmcnt(3)
	v_lshrrev_b32_e32 v4, 16, v7
	s_waitcnt lgkmcnt(2)
	v_lshrrev_b32_e32 v6, 16, v9
	;; [unrolled: 2-line block ×3, first 2 shown]
	v_mul_u32_u24_e32 v19, 36, v19
	s_waitcnt lgkmcnt(0)
	v_lshrrev_b32_e32 v60, 16, v22
	s_waitcnt vmcnt(1)
	v_mul_f16_sdwa v5, v7, v1 dst_sel:DWORD dst_unused:UNUSED_PAD src0_sel:DWORD src1_sel:WORD_1
	v_fma_f16 v5, v4, v1, v5
	v_mul_f16_sdwa v4, v4, v1 dst_sel:DWORD dst_unused:UNUSED_PAD src0_sel:DWORD src1_sel:WORD_1
	v_fma_f16 v17, v7, v1, -v4
	v_mul_u32_u24_sdwa v4, v20, s13 dst_sel:DWORD dst_unused:UNUSED_PAD src0_sel:WORD_0 src1_sel:DWORD
	v_lshrrev_b32_e32 v28, 18, v4
	v_mul_lo_u16_e32 v4, 6, v28
	v_mul_f16_sdwa v13, v9, v3 dst_sel:DWORD dst_unused:UNUSED_PAD src0_sel:DWORD src1_sel:WORD_1
	v_sub_u16_e32 v29, v20, v4
	v_fma_f16 v13, v6, v3, v13
	v_add_f16_e32 v15, v14, v5
	v_mul_lo_u16_e32 v4, 20, v29
	v_add_f16_e32 v25, v15, v13
	v_sub_f16_e32 v26, v5, v13
	v_add_f16_e32 v5, v5, v13
	v_mul_f16_sdwa v15, v6, v3 dst_sel:DWORD dst_unused:UNUSED_PAD src0_sel:DWORD src1_sel:WORD_1
	v_add_co_u32_e32 v13, vcc, s2, v4
	v_fma_f16 v27, v5, -0.5, v14
	v_addc_co_u32_e32 v14, vcc, 0, v21, vcc
	v_fma_f16 v9, v9, v3, -v15
	v_add_f16_e32 v18, v11, v17
	global_load_dwordx4 v[4:7], v[13:14], off
	ds_read2st64_b32 v[15:16], v43 offset0:6 offset1:9
	v_add_f16_e32 v30, v18, v9
	v_add_f16_e32 v31, v17, v9
	v_sub_f16_e32 v9, v17, v9
	ds_read2st64_b32 v[17:18], v43 offset0:18 offset1:21
	s_waitcnt lgkmcnt(1)
	v_lshrrev_b32_e32 v32, 16, v15
	v_mul_f16_sdwa v33, v15, v0 dst_sel:DWORD dst_unused:UNUSED_PAD src0_sel:DWORD src1_sel:WORD_1
	v_fma_f16 v33, v32, v0, v33
	v_mul_f16_sdwa v32, v32, v0 dst_sel:DWORD dst_unused:UNUSED_PAD src0_sel:DWORD src1_sel:WORD_1
	s_waitcnt lgkmcnt(0)
	v_lshrrev_b32_e32 v34, 16, v17
	v_mul_f16_sdwa v58, v17, v2 dst_sel:DWORD dst_unused:UNUSED_PAD src0_sel:DWORD src1_sel:WORD_1
	v_fma_f16 v59, v34, v2, v58
	s_waitcnt vmcnt(1)
	v_mul_f16_sdwa v58, v22, v55 dst_sel:DWORD dst_unused:UNUSED_PAD src0_sel:DWORD src1_sel:WORD_1
	v_fma_f16 v61, v60, v55, v58
	v_add_f16_e32 v58, v33, v59
	v_add_f16_e32 v62, v58, v61
	global_load_dword v58, v[13:14], off offset:16
	v_fma_f16 v15, v15, v0, -v32
	v_mul_f16_sdwa v32, v34, v2 dst_sel:DWORD dst_unused:UNUSED_PAD src0_sel:DWORD src1_sel:WORD_1
	v_fma_f16 v17, v17, v2, -v32
	v_mul_f16_sdwa v32, v60, v55 dst_sel:DWORD dst_unused:UNUSED_PAD src0_sel:DWORD src1_sel:WORD_1
	v_fma_f16 v22, v22, v55, -v32
	v_add_f16_e32 v14, v59, v61
	v_add_f16_e32 v32, v17, v22
	v_fma_f16 v14, v14, -0.5, v33
	v_fma_f16 v32, v32, -0.5, v15
	v_add_f16_e32 v15, v15, v17
	v_sub_f16_e32 v17, v17, v22
	s_mov_b32 s13, 0xbaee
	v_sub_f16_e32 v13, v59, v61
	v_fma_f16 v33, v17, s13, v14
	v_add_f16_e32 v15, v15, v22
	v_fma_f16 v22, v13, s0, v32
	v_mul_f16_e32 v34, 0x3aee, v33
	v_fma_f16 v34, v22, 0.5, v34
	v_mul_f16_e32 v22, 0xbaee, v22
	v_add_lshl_u32 v59, v19, v24, 2
	v_add_f16_e32 v19, v30, v15
	v_add_f16_e32 v24, v25, v62
	v_fma_f16 v11, v31, -0.5, v11
	v_fma_f16 v13, v13, s13, v32
	v_fma_f16 v22, v33, 0.5, v22
	v_pack_b32_f16 v19, v19, v24
	v_fma_f16 v24, v26, s0, v11
	v_fma_f16 v31, v9, s13, v27
	;; [unrolled: 1-line block ×3, first 2 shown]
	v_mul_f16_e32 v17, -0.5, v13
	v_add_f16_e32 v33, v24, v34
	v_add_f16_e32 v60, v31, v22
	v_fma_f16 v17, v14, s0, v17
	v_mul_f16_e32 v14, -0.5, v14
	v_pack_b32_f16 v33, v33, v60
	v_fma_f16 v11, v26, s13, v11
	v_fma_f16 v9, v9, s0, v27
	v_fma_f16 v13, v13, s13, v14
	s_waitcnt vmcnt(0)
	s_barrier
	ds_write2_b32 v59, v19, v33 offset1:6
	v_sub_f16_e32 v14, v30, v15
	v_sub_f16_e32 v15, v25, v62
	v_add_f16_e32 v19, v11, v17
	v_add_f16_e32 v25, v9, v13
	v_pack_b32_f16 v19, v19, v25
	v_pack_b32_f16 v14, v14, v15
	ds_write2_b32 v59, v19, v14 offset0:12 offset1:18
	v_sub_f16_e32 v14, v24, v34
	v_sub_f16_e32 v11, v11, v17
	;; [unrolled: 1-line block ×4, first 2 shown]
	v_pack_b32_f16 v13, v14, v15
	v_pack_b32_f16 v9, v11, v9
	ds_write2_b32 v59, v13, v9 offset0:24 offset1:30
	v_lshrrev_b32_e32 v9, 16, v16
	v_lshrrev_b32_e32 v22, 16, v12
	v_mul_u32_u24_sdwa v30, v20, s15 dst_sel:DWORD dst_unused:UNUSED_PAD src0_sel:WORD_0 src1_sel:DWORD
	v_lshrrev_b32_e32 v31, 21, v30
	v_mul_f16_sdwa v13, v16, v4 dst_sel:DWORD dst_unused:UNUSED_PAD src0_sel:DWORD src1_sel:WORD_1
	v_mul_f16_sdwa v11, v9, v4 dst_sel:DWORD dst_unused:UNUSED_PAD src0_sel:DWORD src1_sel:WORD_1
	v_fma_f16 v9, v9, v4, v13
	v_lshrrev_b32_e32 v13, 16, v8
	v_mul_f16_sdwa v14, v13, v5 dst_sel:DWORD dst_unused:UNUSED_PAD src0_sel:DWORD src1_sel:WORD_1
	v_fma_f16 v14, v8, v5, -v14
	v_mul_f16_sdwa v8, v8, v5 dst_sel:DWORD dst_unused:UNUSED_PAD src0_sel:DWORD src1_sel:WORD_1
	v_fma_f16 v11, v16, v4, -v11
	v_fma_f16 v8, v13, v5, v8
	v_lshrrev_b32_e32 v13, 16, v18
	v_mul_f16_sdwa v16, v18, v6 dst_sel:DWORD dst_unused:UNUSED_PAD src0_sel:DWORD src1_sel:WORD_1
	v_mul_f16_sdwa v15, v13, v6 dst_sel:DWORD dst_unused:UNUSED_PAD src0_sel:DWORD src1_sel:WORD_1
	v_fma_f16 v13, v13, v6, v16
	v_lshrrev_b32_e32 v16, 16, v10
	v_mul_f16_sdwa v17, v16, v7 dst_sel:DWORD dst_unused:UNUSED_PAD src0_sel:DWORD src1_sel:WORD_1
	v_fma_f16 v17, v10, v7, -v17
	v_mul_f16_sdwa v10, v10, v7 dst_sel:DWORD dst_unused:UNUSED_PAD src0_sel:DWORD src1_sel:WORD_1
	v_fma_f16 v10, v16, v7, v10
	v_lshrrev_b32_e32 v16, 16, v23
	v_mul_f16_sdwa v19, v23, v58 dst_sel:DWORD dst_unused:UNUSED_PAD src0_sel:DWORD src1_sel:WORD_1
	v_fma_f16 v15, v18, v6, -v15
	v_mul_f16_sdwa v18, v16, v58 dst_sel:DWORD dst_unused:UNUSED_PAD src0_sel:DWORD src1_sel:WORD_1
	v_fma_f16 v16, v16, v58, v19
	v_add_f16_e32 v19, v14, v17
	v_fma_f16 v18, v23, v58, -v18
	v_fma_f16 v19, v19, -0.5, v12
	v_add_f16_e32 v12, v12, v14
	v_add_f16_e32 v23, v22, v8
	;; [unrolled: 1-line block ×3, first 2 shown]
	v_sub_f16_e32 v24, v8, v10
	v_add_f16_e32 v8, v8, v10
	v_add_f16_e32 v10, v12, v17
	v_sub_f16_e32 v12, v14, v17
	v_add_f16_e32 v14, v9, v13
	v_sub_f16_e32 v17, v13, v16
	v_add_f16_e32 v13, v13, v16
	v_fma_f16 v9, v13, -0.5, v9
	v_add_f16_e32 v13, v15, v18
	v_fma_f16 v13, v13, -0.5, v11
	v_add_f16_e32 v11, v11, v15
	v_sub_f16_e32 v15, v15, v18
	v_fma_f16 v8, v8, -0.5, v22
	v_add_f16_e32 v11, v11, v18
	v_fma_f16 v18, v15, s13, v9
	v_add_f16_e32 v14, v14, v16
	v_fma_f16 v16, v17, s0, v13
	v_mul_f16_e32 v22, 0x3aee, v18
	v_fma_f16 v27, v12, s13, v8
	v_fma_f16 v8, v12, s0, v8
	;; [unrolled: 1-line block ×3, first 2 shown]
	v_fma_f16 v22, v16, 0.5, v22
	v_mul_f16_e32 v16, 0xbaee, v16
	v_fma_f16 v9, v15, s0, v9
	v_mul_f16_e32 v13, -0.5, v12
	v_fma_f16 v16, v18, 0.5, v16
	v_mad_legacy_u16 v18, v28, 36, v29
	v_fma_f16 v13, v9, s0, v13
	v_mul_f16_e32 v9, -0.5, v9
	v_lshlrev_b32_e32 v60, 2, v18
	v_fma_f16 v18, v24, s13, v19
	v_fma_f16 v9, v12, s13, v9
	v_add_f16_e32 v25, v10, v11
	v_add_f16_e32 v26, v23, v14
	v_sub_f16_e32 v10, v10, v11
	v_sub_f16_e32 v11, v23, v14
	v_add_f16_e32 v12, v18, v13
	v_add_f16_e32 v14, v8, v9
	v_pack_b32_f16 v25, v25, v26
	v_fma_f16 v26, v24, s0, v19
	v_pack_b32_f16 v12, v12, v14
	v_pack_b32_f16 v10, v10, v11
	ds_write2_b32 v60, v12, v10 offset0:12 offset1:18
	v_sub_f16_e32 v10, v26, v22
	v_sub_f16_e32 v11, v18, v13
	;; [unrolled: 1-line block ×4, first 2 shown]
	v_pack_b32_f16 v9, v10, v12
	v_pack_b32_f16 v8, v11, v8
	ds_write2_b32 v60, v9, v8 offset0:24 offset1:30
	v_mov_b32_e32 v8, 57
	v_mul_lo_u16_sdwa v8, v51, v8 dst_sel:DWORD dst_unused:UNUSED_PAD src0_sel:BYTE_0 src1_sel:DWORD
	v_lshrrev_b16_e32 v14, 11, v8
	v_mul_lo_u16_e32 v8, 36, v14
	v_sub_u16_e32 v8, v51, v8
	v_and_b32_e32 v15, 0xff, v8
	v_mad_u64_u32 v[8:9], s[16:17], v15, 12, s[2:3]
	v_add_f16_e32 v28, v26, v22
	v_add_f16_e32 v29, v27, v16
	v_pack_b32_f16 v28, v28, v29
	ds_write2_b32 v60, v25, v28 offset1:6
	s_waitcnt lgkmcnt(0)
	s_barrier
	global_load_dwordx3 v[8:10], v[8:9], off offset:120
	v_mul_lo_u16_e32 v11, 36, v31
	v_sub_u16_e32 v32, v20, v11
	v_mul_lo_u16_e32 v11, 12, v32
	v_add_co_u32_e32 v11, vcc, s2, v11
	v_addc_co_u32_e32 v12, vcc, 0, v21, vcc
	global_load_dwordx3 v[11:13], v[11:12], off offset:120
	ds_read2st64_b32 v[17:18], v43 offset0:6 offset1:9
	s_movk_i32 s16, 0x180
	v_mul_u32_u24_e32 v14, 0x90, v14
	v_add_co_u32_e32 v33, vcc, s16, v51
	v_add_lshl_u32 v61, v14, v15, 2
	s_waitcnt lgkmcnt(0)
	v_lshrrev_b32_e32 v14, 16, v18
	v_mul_u32_u24_sdwa v34, v33, s15 dst_sel:DWORD dst_unused:UNUSED_PAD src0_sel:WORD_0 src1_sel:DWORD
	v_lshrrev_b32_e32 v63, 21, v34
	ds_read2st64_b32 v[22:23], v43 offset0:18 offset1:21
	s_movk_i32 s15, 0x90
	v_lshrrev_b32_e32 v68, 23, v34
	s_waitcnt lgkmcnt(0)
	v_lshrrev_b32_e32 v24, 16, v22
	s_waitcnt vmcnt(1)
	v_mul_f16_sdwa v15, v18, v8 dst_sel:DWORD dst_unused:UNUSED_PAD src0_sel:DWORD src1_sel:WORD_1
	v_fma_f16 v26, v14, v8, v15
	v_mul_f16_sdwa v14, v14, v8 dst_sel:DWORD dst_unused:UNUSED_PAD src0_sel:DWORD src1_sel:WORD_1
	v_fma_f16 v27, v18, v8, -v14
	v_mul_lo_u16_e32 v14, 36, v63
	v_sub_u16_e32 v64, v33, v14
	v_mul_lo_u16_e32 v14, 12, v64
	v_add_co_u32_e32 v14, vcc, s2, v14
	v_addc_co_u32_e32 v15, vcc, 0, v21, vcc
	global_load_dwordx3 v[14:16], v[14:15], off offset:120
	v_mul_f16_sdwa v25, v22, v9 dst_sel:DWORD dst_unused:UNUSED_PAD src0_sel:DWORD src1_sel:WORD_1
	ds_read2st64_b32 v[18:19], v43 offset0:24 offset1:27
	v_fma_f16 v28, v24, v9, v25
	v_mul_f16_sdwa v24, v24, v9 dst_sel:DWORD dst_unused:UNUSED_PAD src0_sel:DWORD src1_sel:WORD_1
	v_fma_f16 v22, v22, v9, -v24
	ds_read2st64_b32 v[24:25], v43 offset1:3
	s_waitcnt lgkmcnt(1)
	v_lshrrev_b32_e32 v29, 16, v19
	v_mul_f16_sdwa v62, v19, v10 dst_sel:DWORD dst_unused:UNUSED_PAD src0_sel:DWORD src1_sel:WORD_1
	v_fma_f16 v62, v29, v10, v62
	v_mul_f16_sdwa v29, v29, v10 dst_sel:DWORD dst_unused:UNUSED_PAD src0_sel:DWORD src1_sel:WORD_1
	v_fma_f16 v19, v19, v10, -v29
	s_waitcnt lgkmcnt(0)
	v_lshrrev_b32_e32 v29, 16, v24
	v_sub_f16_e32 v22, v24, v22
	v_sub_f16_e32 v28, v29, v28
	;; [unrolled: 1-line block ×4, first 2 shown]
	v_fma_f16 v29, v29, 2.0, -v28
	v_fma_f16 v27, v27, 2.0, -v19
	;; [unrolled: 1-line block ×4, first 2 shown]
	v_sub_f16_e32 v65, v24, v27
	v_sub_f16_e32 v66, v29, v26
	v_fma_f16 v24, v24, 2.0, -v65
	v_fma_f16 v26, v29, 2.0, -v66
	v_sub_f16_e32 v62, v22, v62
	v_add_f16_e32 v19, v28, v19
	v_pack_b32_f16 v24, v24, v26
	v_fma_f16 v22, v22, 2.0, -v62
	v_fma_f16 v26, v28, 2.0, -v19
	v_pack_b32_f16 v22, v22, v26
	ds_read2st64_b32 v[26:27], v43 offset0:12 offset1:15
	ds_read2st64_b32 v[28:29], v43 offset0:30 offset1:33
	s_waitcnt vmcnt(0) lgkmcnt(0)
	s_barrier
	ds_write2_b32 v61, v24, v22 offset1:36
	v_pack_b32_f16 v22, v65, v66
	v_pack_b32_f16 v19, v62, v19
	ds_write2_b32 v61, v22, v19 offset0:72 offset1:108
	v_lshrrev_b32_e32 v19, 16, v23
	v_mul_f16_sdwa v22, v19, v12 dst_sel:DWORD dst_unused:UNUSED_PAD src0_sel:DWORD src1_sel:WORD_1
	v_fma_f16 v22, v23, v12, -v22
	v_mul_f16_sdwa v23, v23, v12 dst_sel:DWORD dst_unused:UNUSED_PAD src0_sel:DWORD src1_sel:WORD_1
	v_sub_f16_e32 v22, v25, v22
	v_fma_f16 v19, v19, v12, v23
	v_lshrrev_b32_e32 v23, 16, v25
	v_fma_f16 v24, v25, 2.0, -v22
	v_mad_legacy_u16 v25, v31, s15, v32
	v_lshrrev_b32_e32 v31, 16, v26
	v_mul_f16_sdwa v32, v26, v11 dst_sel:DWORD dst_unused:UNUSED_PAD src0_sel:DWORD src1_sel:WORD_1
	v_fma_f16 v32, v31, v11, v32
	v_mul_f16_sdwa v31, v31, v11 dst_sel:DWORD dst_unused:UNUSED_PAD src0_sel:DWORD src1_sel:WORD_1
	v_fma_f16 v26, v26, v11, -v31
	v_lshrrev_b32_e32 v31, 16, v28
	v_mul_f16_sdwa v62, v28, v13 dst_sel:DWORD dst_unused:UNUSED_PAD src0_sel:DWORD src1_sel:WORD_1
	v_fma_f16 v62, v31, v13, v62
	v_mul_f16_sdwa v31, v31, v13 dst_sel:DWORD dst_unused:UNUSED_PAD src0_sel:DWORD src1_sel:WORD_1
	v_fma_f16 v28, v28, v13, -v31
	v_sub_f16_e32 v19, v23, v19
	v_sub_f16_e32 v28, v26, v28
	;; [unrolled: 1-line block ×3, first 2 shown]
	v_fma_f16 v23, v23, 2.0, -v19
	v_fma_f16 v26, v26, 2.0, -v28
	;; [unrolled: 1-line block ×3, first 2 shown]
	v_sub_f16_e32 v26, v24, v26
	v_sub_f16_e32 v32, v23, v32
	v_fma_f16 v24, v24, 2.0, -v26
	v_fma_f16 v23, v23, 2.0, -v32
	v_pack_b32_f16 v23, v24, v23
	v_sub_f16_e32 v24, v22, v31
	v_add_f16_e32 v28, v19, v28
	v_fma_f16 v22, v22, 2.0, -v24
	v_fma_f16 v19, v19, 2.0, -v28
	v_pack_b32_f16 v19, v22, v19
	v_lshlrev_b32_e32 v62, 2, v25
	ds_write2_b32 v62, v23, v19 offset1:36
	v_pack_b32_f16 v19, v26, v32
	v_pack_b32_f16 v22, v24, v28
	ds_write2_b32 v62, v19, v22 offset0:72 offset1:108
	v_lshrrev_b32_e32 v19, 16, v27
	v_mul_f16_sdwa v23, v27, v14 dst_sel:DWORD dst_unused:UNUSED_PAD src0_sel:DWORD src1_sel:WORD_1
	v_mul_f16_sdwa v22, v19, v14 dst_sel:DWORD dst_unused:UNUSED_PAD src0_sel:DWORD src1_sel:WORD_1
	v_fma_f16 v19, v19, v14, v23
	v_lshrrev_b32_e32 v23, 16, v18
	v_mul_f16_sdwa v24, v23, v15 dst_sel:DWORD dst_unused:UNUSED_PAD src0_sel:DWORD src1_sel:WORD_1
	v_fma_f16 v24, v18, v15, -v24
	v_mul_f16_sdwa v18, v18, v15 dst_sel:DWORD dst_unused:UNUSED_PAD src0_sel:DWORD src1_sel:WORD_1
	v_fma_f16 v18, v23, v15, v18
	v_lshrrev_b32_e32 v23, 16, v29
	v_mul_f16_sdwa v25, v23, v16 dst_sel:DWORD dst_unused:UNUSED_PAD src0_sel:DWORD src1_sel:WORD_1
	v_mul_f16_sdwa v26, v29, v16 dst_sel:DWORD dst_unused:UNUSED_PAD src0_sel:DWORD src1_sel:WORD_1
	v_fma_f16 v22, v27, v14, -v22
	v_fma_f16 v25, v29, v16, -v25
	v_fma_f16 v23, v23, v16, v26
	v_lshrrev_b32_e32 v26, 16, v17
	v_sub_f16_e32 v24, v17, v24
	v_sub_f16_e32 v18, v26, v18
	;; [unrolled: 1-line block ×4, first 2 shown]
	v_fma_f16 v17, v17, 2.0, -v24
	v_fma_f16 v26, v26, 2.0, -v18
	;; [unrolled: 1-line block ×4, first 2 shown]
	v_sub_f16_e32 v22, v17, v22
	v_sub_f16_e32 v19, v26, v19
	;; [unrolled: 1-line block ×3, first 2 shown]
	v_add_f16_e32 v25, v18, v25
	v_mad_legacy_u16 v27, v63, s15, v64
	v_fma_f16 v17, v17, 2.0, -v22
	v_fma_f16 v26, v26, 2.0, -v19
	;; [unrolled: 1-line block ×4, first 2 shown]
	v_pack_b32_f16 v17, v17, v26
	v_pack_b32_f16 v18, v24, v18
	v_lshlrev_b32_e32 v63, 2, v27
	ds_write2_b32 v63, v17, v18 offset1:36
	v_pack_b32_f16 v17, v22, v19
	v_pack_b32_f16 v18, v23, v25
	ds_write2_b32 v63, v17, v18 offset0:72 offset1:108
	v_add_u32_e32 v17, 0xffffff70, v51
	v_cmp_gt_u16_e32 vcc, s15, v51
	v_cndmask_b32_e32 v24, v17, v51, vcc
	v_mul_i32_i24_e32 v17, 12, v24
	v_mul_hi_i32_i24_e32 v18, 12, v24
	v_add_co_u32_e32 v17, vcc, s2, v17
	v_addc_co_u32_e32 v18, vcc, v21, v18, vcc
	s_waitcnt lgkmcnt(0)
	s_barrier
	global_load_dwordx3 v[17:19], v[17:18], off offset:552
	v_lshrrev_b32_e32 v66, 23, v30
	v_mul_lo_u16_e32 v22, 0x90, v66
	v_sub_u16_e32 v67, v20, v22
	v_mul_lo_u16_e32 v20, 12, v67
	v_add_co_u32_e32 v22, vcc, s2, v20
	v_addc_co_u32_e32 v23, vcc, 0, v21, vcc
	global_load_dwordx3 v[26:28], v[22:23], off offset:552
	v_mul_lo_u16_e32 v20, 0x90, v68
	v_sub_u16_e32 v69, v33, v20
	v_mul_lo_u16_e32 v20, 12, v69
	v_add_co_u32_e32 v20, vcc, s2, v20
	v_addc_co_u32_e32 v21, vcc, 0, v21, vcc
	s_movk_i32 s15, 0x8f
	ds_read2st64_b32 v[22:23], v43 offset0:6 offset1:9
	v_mov_b32_e32 v25, 0x240
	v_cmp_lt_u16_e32 vcc, s15, v51
	v_cndmask_b32_e32 v25, 0, v25, vcc
	v_add_lshl_u32 v64, v24, v25, 2
	ds_read2st64_b32 v[24:25], v43 offset0:18 offset1:21
	s_waitcnt lgkmcnt(1)
	v_lshrrev_b32_e32 v29, 16, v23
	ds_read2st64_b32 v[32:33], v43 offset0:24 offset1:27
	s_movk_i32 s15, 0x240
	v_mad_legacy_u16 v66, v66, s15, v67
	v_lshlrev_b32_e32 v66, 2, v66
	s_waitcnt vmcnt(1)
	v_mul_f16_sdwa v30, v23, v17 dst_sel:DWORD dst_unused:UNUSED_PAD src0_sel:DWORD src1_sel:WORD_1
	v_fma_f16 v34, v29, v17, v30
	v_mul_f16_sdwa v29, v29, v17 dst_sel:DWORD dst_unused:UNUSED_PAD src0_sel:DWORD src1_sel:WORD_1
	v_fma_f16 v23, v23, v17, -v29
	s_waitcnt lgkmcnt(1)
	v_lshrrev_b32_e32 v29, 16, v24
	v_mul_f16_sdwa v30, v24, v18 dst_sel:DWORD dst_unused:UNUSED_PAD src0_sel:DWORD src1_sel:WORD_1
	v_fma_f16 v65, v29, v18, v30
	v_mul_f16_sdwa v70, v29, v18 dst_sel:DWORD dst_unused:UNUSED_PAD src0_sel:DWORD src1_sel:WORD_1
	global_load_dwordx3 v[29:31], v[20:21], off offset:552
	ds_read2st64_b32 v[20:21], v43 offset1:3
	v_fma_f16 v24, v24, v18, -v70
	s_waitcnt lgkmcnt(1)
	v_lshrrev_b32_e32 v70, 16, v33
	v_mul_f16_sdwa v71, v33, v19 dst_sel:DWORD dst_unused:UNUSED_PAD src0_sel:DWORD src1_sel:WORD_1
	v_fma_f16 v71, v70, v19, v71
	v_mul_f16_sdwa v70, v70, v19 dst_sel:DWORD dst_unused:UNUSED_PAD src0_sel:DWORD src1_sel:WORD_1
	v_fma_f16 v33, v33, v19, -v70
	s_waitcnt lgkmcnt(0)
	v_lshrrev_b32_e32 v70, 16, v20
	v_sub_f16_e32 v24, v20, v24
	v_sub_f16_e32 v65, v70, v65
	;; [unrolled: 1-line block ×4, first 2 shown]
	v_fma_f16 v70, v70, 2.0, -v65
	v_fma_f16 v23, v23, 2.0, -v33
	;; [unrolled: 1-line block ×4, first 2 shown]
	v_sub_f16_e32 v72, v20, v23
	v_sub_f16_e32 v73, v70, v34
	v_fma_f16 v20, v20, 2.0, -v72
	v_fma_f16 v23, v70, 2.0, -v73
	v_sub_f16_e32 v70, v24, v71
	v_add_f16_e32 v71, v65, v33
	v_pack_b32_f16 v20, v20, v23
	v_fma_f16 v23, v24, 2.0, -v70
	v_fma_f16 v24, v65, 2.0, -v71
	v_pack_b32_f16 v65, v23, v24
	ds_read2st64_b32 v[23:24], v43 offset0:12 offset1:15
	ds_read2st64_b32 v[33:34], v43 offset0:30 offset1:33
	s_waitcnt vmcnt(0) lgkmcnt(0)
	s_barrier
	ds_write2_b32 v64, v20, v65 offset1:144
	v_pack_b32_f16 v20, v72, v73
	v_pack_b32_f16 v70, v70, v71
	v_add_u32_e32 v65, 0x400, v64
	ds_write2_b32 v65, v20, v70 offset0:32 offset1:176
	v_lshrrev_b32_e32 v20, 16, v25
	v_lshrrev_b32_e32 v67, 16, v23
	v_mul_f16_sdwa v71, v23, v26 dst_sel:DWORD dst_unused:UNUSED_PAD src0_sel:DWORD src1_sel:WORD_1
	v_mul_f16_sdwa v70, v20, v27 dst_sel:DWORD dst_unused:UNUSED_PAD src0_sel:DWORD src1_sel:WORD_1
	v_fma_f16 v71, v67, v26, v71
	v_mul_f16_sdwa v67, v67, v26 dst_sel:DWORD dst_unused:UNUSED_PAD src0_sel:DWORD src1_sel:WORD_1
	v_fma_f16 v70, v25, v27, -v70
	v_mul_f16_sdwa v25, v25, v27 dst_sel:DWORD dst_unused:UNUSED_PAD src0_sel:DWORD src1_sel:WORD_1
	v_fma_f16 v23, v23, v26, -v67
	v_lshrrev_b32_e32 v67, 16, v33
	v_mul_f16_sdwa v72, v33, v28 dst_sel:DWORD dst_unused:UNUSED_PAD src0_sel:DWORD src1_sel:WORD_1
	v_fma_f16 v20, v20, v27, v25
	v_sub_f16_e32 v25, v21, v70
	v_lshrrev_b32_e32 v70, 16, v21
	v_fma_f16 v72, v67, v28, v72
	v_mul_f16_sdwa v67, v67, v28 dst_sel:DWORD dst_unused:UNUSED_PAD src0_sel:DWORD src1_sel:WORD_1
	v_fma_f16 v33, v33, v28, -v67
	v_sub_f16_e32 v20, v70, v20
	v_fma_f16 v67, v70, 2.0, -v20
	v_sub_f16_e32 v33, v23, v33
	v_sub_f16_e32 v70, v71, v72
	v_fma_f16 v21, v21, 2.0, -v25
	v_fma_f16 v23, v23, 2.0, -v33
	;; [unrolled: 1-line block ×3, first 2 shown]
	v_sub_f16_e32 v23, v21, v23
	v_sub_f16_e32 v71, v67, v71
	v_fma_f16 v21, v21, 2.0, -v23
	v_fma_f16 v67, v67, 2.0, -v71
	v_pack_b32_f16 v21, v21, v67
	v_sub_f16_e32 v67, v25, v70
	v_add_f16_e32 v33, v20, v33
	v_fma_f16 v25, v25, 2.0, -v67
	v_fma_f16 v20, v20, 2.0, -v33
	v_pack_b32_f16 v20, v25, v20
	ds_write2_b32 v66, v21, v20 offset1:144
	v_pack_b32_f16 v20, v23, v71
	v_pack_b32_f16 v21, v67, v33
	v_add_u32_e32 v67, 0x400, v66
	ds_write2_b32 v67, v20, v21 offset0:32 offset1:176
	v_lshrrev_b32_e32 v20, 16, v24
	v_mul_f16_sdwa v23, v24, v29 dst_sel:DWORD dst_unused:UNUSED_PAD src0_sel:DWORD src1_sel:WORD_1
	v_mul_f16_sdwa v21, v20, v29 dst_sel:DWORD dst_unused:UNUSED_PAD src0_sel:DWORD src1_sel:WORD_1
	v_fma_f16 v20, v20, v29, v23
	v_lshrrev_b32_e32 v23, 16, v32
	v_mul_f16_sdwa v25, v32, v30 dst_sel:DWORD dst_unused:UNUSED_PAD src0_sel:DWORD src1_sel:WORD_1
	v_fma_f16 v21, v24, v29, -v21
	v_mul_f16_sdwa v24, v23, v30 dst_sel:DWORD dst_unused:UNUSED_PAD src0_sel:DWORD src1_sel:WORD_1
	v_fma_f16 v23, v23, v30, v25
	v_lshrrev_b32_e32 v25, 16, v34
	v_fma_f16 v24, v32, v30, -v24
	v_mul_f16_sdwa v32, v25, v31 dst_sel:DWORD dst_unused:UNUSED_PAD src0_sel:DWORD src1_sel:WORD_1
	v_mul_f16_sdwa v33, v34, v31 dst_sel:DWORD dst_unused:UNUSED_PAD src0_sel:DWORD src1_sel:WORD_1
	v_fma_f16 v32, v34, v31, -v32
	v_fma_f16 v25, v25, v31, v33
	v_lshrrev_b32_e32 v33, 16, v22
	v_sub_f16_e32 v24, v22, v24
	v_sub_f16_e32 v23, v33, v23
	;; [unrolled: 1-line block ×4, first 2 shown]
	v_fma_f16 v22, v22, 2.0, -v24
	v_fma_f16 v33, v33, 2.0, -v23
	;; [unrolled: 1-line block ×4, first 2 shown]
	v_sub_f16_e32 v21, v22, v21
	v_sub_f16_e32 v20, v33, v20
	v_sub_f16_e32 v25, v24, v25
	v_add_f16_e32 v32, v23, v32
	v_mad_legacy_u16 v34, v68, s15, v69
	v_fma_f16 v22, v22, 2.0, -v21
	v_fma_f16 v33, v33, 2.0, -v20
	;; [unrolled: 1-line block ×4, first 2 shown]
	v_pack_b32_f16 v22, v22, v33
	v_pack_b32_f16 v23, v24, v23
	v_lshlrev_b32_e32 v68, 2, v34
	ds_write2_b32 v68, v22, v23 offset1:144
	v_mad_u64_u32 v[23:24], s[2:3], v51, 12, s[2:3]
	v_pack_b32_f16 v20, v21, v20
	v_pack_b32_f16 v21, v25, v32
	v_add_u32_e32 v69, 0x400, v68
	ds_write2_b32 v69, v20, v21 offset0:32 offset1:176
	s_waitcnt lgkmcnt(0)
	s_barrier
	global_load_dwordx3 v[20:22], v[23:24], off offset:2280
	v_add_co_u32_e32 v32, vcc, s14, v23
	v_addc_co_u32_e32 v33, vcc, 0, v24, vcc
	global_load_dwordx3 v[23:25], v[32:33], off offset:488
	ds_read2st64_b32 v[70:71], v43 offset0:18 offset1:21
	global_load_dwordx3 v[32:34], v[32:33], off offset:2792
	s_mov_b32 s2, 0xb8003800
	s_waitcnt lgkmcnt(0)
	v_lshrrev_b32_e32 v72, 16, v70
	v_lshrrev_b32_e32 v75, 16, v71
	s_waitcnt vmcnt(2)
	v_mul_f16_sdwa v73, v70, v21 dst_sel:DWORD dst_unused:UNUSED_PAD src0_sel:DWORD src1_sel:WORD_1
	v_fma_f16 v74, v72, v21, v73
	v_mul_f16_sdwa v72, v72, v21 dst_sel:DWORD dst_unused:UNUSED_PAD src0_sel:DWORD src1_sel:WORD_1
	v_fma_f16 v70, v70, v21, -v72
	ds_read2st64_b32 v[72:73], v43 offset1:3
	s_waitcnt vmcnt(1)
	v_mul_f16_sdwa v76, v75, v24 dst_sel:DWORD dst_unused:UNUSED_PAD src0_sel:DWORD src1_sel:WORD_1
	v_fma_f16 v76, v71, v24, -v76
	v_mul_f16_sdwa v71, v71, v24 dst_sel:DWORD dst_unused:UNUSED_PAD src0_sel:DWORD src1_sel:WORD_1
	v_fma_f16 v77, v75, v24, v71
	s_waitcnt lgkmcnt(0)
	v_sub_f16_e32 v75, v72, v70
	ds_read2st64_b32 v[70:71], v43 offset0:6 offset1:9
	v_sub_f16_e32 v78, v73, v76
	v_lshrrev_b32_e32 v76, 16, v72
	v_lshrrev_b32_e32 v79, 16, v73
	v_fma_f16 v80, v72, 2.0, -v75
	v_fma_f16 v81, v73, 2.0, -v78
	ds_read2st64_b32 v[72:73], v43 offset0:24 offset1:27
	s_waitcnt lgkmcnt(1)
	v_lshrrev_b32_e32 v82, 16, v71
	v_mul_f16_sdwa v83, v71, v20 dst_sel:DWORD dst_unused:UNUSED_PAD src0_sel:DWORD src1_sel:WORD_1
	v_fma_f16 v83, v82, v20, v83
	v_mul_f16_sdwa v82, v82, v20 dst_sel:DWORD dst_unused:UNUSED_PAD src0_sel:DWORD src1_sel:WORD_1
	v_fma_f16 v71, v71, v20, -v82
	s_waitcnt lgkmcnt(0)
	v_lshrrev_b32_e32 v82, 16, v73
	v_mul_f16_sdwa v84, v73, v22 dst_sel:DWORD dst_unused:UNUSED_PAD src0_sel:DWORD src1_sel:WORD_1
	v_fma_f16 v84, v82, v22, v84
	v_mul_f16_sdwa v82, v82, v22 dst_sel:DWORD dst_unused:UNUSED_PAD src0_sel:DWORD src1_sel:WORD_1
	v_fma_f16 v73, v73, v22, -v82
	v_sub_f16_e32 v74, v76, v74
	v_sub_f16_e32 v73, v71, v73
	;; [unrolled: 1-line block ×3, first 2 shown]
	v_fma_f16 v76, v76, 2.0, -v74
	v_fma_f16 v71, v71, 2.0, -v73
	;; [unrolled: 1-line block ×3, first 2 shown]
	v_sub_f16_e32 v71, v80, v71
	v_sub_f16_e32 v83, v76, v83
	;; [unrolled: 1-line block ×3, first 2 shown]
	v_add_f16_e32 v84, v74, v73
	v_fma_f16 v80, v80, 2.0, -v71
	v_fma_f16 v76, v76, 2.0, -v83
	;; [unrolled: 1-line block ×4, first 2 shown]
	v_pack_b32_f16 v80, v80, v76
	v_pack_b32_f16 v85, v73, v74
	ds_read2st64_b32 v[73:74], v43 offset0:12 offset1:15
	ds_read2st64_b32 v[75:76], v43 offset0:30 offset1:33
	v_pack_b32_f16 v71, v71, v83
	ds_write_b32 v43, v71 offset:4608
	v_pack_b32_f16 v71, v82, v84
	ds_write_b32 v43, v71 offset:6912
	s_waitcnt lgkmcnt(3)
	v_lshrrev_b32_e32 v71, 16, v73
	v_mul_f16_sdwa v82, v73, v23 dst_sel:DWORD dst_unused:UNUSED_PAD src0_sel:DWORD src1_sel:WORD_1
	v_fma_f16 v82, v71, v23, v82
	v_mul_f16_sdwa v71, v71, v23 dst_sel:DWORD dst_unused:UNUSED_PAD src0_sel:DWORD src1_sel:WORD_1
	v_fma_f16 v71, v73, v23, -v71
	s_waitcnt lgkmcnt(2)
	v_lshrrev_b32_e32 v73, 16, v75
	v_mul_f16_sdwa v83, v75, v25 dst_sel:DWORD dst_unused:UNUSED_PAD src0_sel:DWORD src1_sel:WORD_1
	v_fma_f16 v83, v73, v25, v83
	v_mul_f16_sdwa v73, v73, v25 dst_sel:DWORD dst_unused:UNUSED_PAD src0_sel:DWORD src1_sel:WORD_1
	v_fma_f16 v73, v75, v25, -v73
	v_sub_f16_e32 v75, v79, v77
	v_fma_f16 v77, v79, 2.0, -v75
	v_sub_f16_e32 v73, v71, v73
	v_sub_f16_e32 v79, v82, v83
	v_fma_f16 v71, v71, 2.0, -v73
	v_fma_f16 v82, v82, 2.0, -v79
	v_sub_f16_e32 v71, v81, v71
	v_sub_f16_e32 v82, v77, v82
	v_fma_f16 v81, v81, 2.0, -v71
	v_fma_f16 v77, v77, 2.0, -v82
	v_pack_b32_f16 v77, v81, v77
	ds_write_b32 v43, v85 offset:2304
	ds_write2st64_b32 v43, v80, v77 offset1:3
	v_lshrrev_b32_e32 v77, 16, v74
	s_waitcnt vmcnt(0)
	v_mul_f16_sdwa v80, v77, v32 dst_sel:DWORD dst_unused:UNUSED_PAD src0_sel:DWORD src1_sel:WORD_1
	v_fma_f16 v80, v74, v32, -v80
	v_mul_f16_sdwa v74, v74, v32 dst_sel:DWORD dst_unused:UNUSED_PAD src0_sel:DWORD src1_sel:WORD_1
	v_fma_f16 v74, v77, v32, v74
	v_lshrrev_b32_e32 v77, 16, v72
	v_mul_f16_sdwa v81, v77, v33 dst_sel:DWORD dst_unused:UNUSED_PAD src0_sel:DWORD src1_sel:WORD_1
	v_fma_f16 v81, v72, v33, -v81
	v_mul_f16_sdwa v72, v72, v33 dst_sel:DWORD dst_unused:UNUSED_PAD src0_sel:DWORD src1_sel:WORD_1
	v_fma_f16 v72, v77, v33, v72
	v_lshrrev_b32_e32 v77, 16, v76
	v_mul_f16_sdwa v83, v77, v34 dst_sel:DWORD dst_unused:UNUSED_PAD src0_sel:DWORD src1_sel:WORD_1
	v_fma_f16 v83, v76, v34, -v83
	v_mul_f16_sdwa v76, v76, v34 dst_sel:DWORD dst_unused:UNUSED_PAD src0_sel:DWORD src1_sel:WORD_1
	v_sub_f16_e32 v79, v78, v79
	v_add_f16_e32 v73, v75, v73
	v_fma_f16 v76, v77, v34, v76
	v_sub_f16_e32 v77, v70, v81
	v_lshrrev_b32_e32 v81, 16, v70
	v_fma_f16 v75, v75, 2.0, -v73
	v_pack_b32_f16 v73, v79, v73
	v_fma_f16 v78, v78, 2.0, -v79
	ds_write_b32 v43, v73 offset:7680
	v_sub_f16_e32 v72, v81, v72
	v_sub_f16_e32 v73, v80, v83
	;; [unrolled: 1-line block ×3, first 2 shown]
	v_pack_b32_f16 v75, v78, v75
	v_sub_f16_e32 v78, v77, v76
	v_add_f16_e32 v79, v72, v73
	v_fma_f16 v70, v70, 2.0, -v77
	v_fma_f16 v77, v77, 2.0, -v78
	;; [unrolled: 1-line block ×6, first 2 shown]
	v_pack_b32_f16 v77, v77, v83
	v_sub_f16_e32 v73, v70, v73
	v_sub_f16_e32 v74, v72, v74
	ds_write2st64_b32 v43, v75, v77 offset0:12 offset1:15
	v_pack_b32_f16 v71, v71, v82
	v_pack_b32_f16 v75, v73, v74
	ds_write2st64_b32 v43, v71, v75 offset0:21 offset1:24
	v_fma_f16 v70, v70, 2.0, -v73
	v_fma_f16 v71, v72, 2.0, -v74
	v_pack_b32_f16 v70, v70, v71
	ds_write_b32 v43, v70 offset:1536
	v_pack_b32_f16 v70, v78, v79
	ds_write_b32 v43, v70 offset:8448
	s_waitcnt lgkmcnt(0)
	s_barrier
	global_load_dword v74, v43, s[6:7]
	global_load_dword v75, v43, s[6:7] offset:768
	global_load_dword v76, v43, s[6:7] offset:1536
	;; [unrolled: 1-line block ×5, first 2 shown]
	v_mov_b32_e32 v70, s7
	v_add_co_u32_e32 v72, vcc, s6, v43
	v_addc_co_u32_e32 v73, vcc, 0, v70, vcc
	v_add_co_u32_e32 v70, vcc, s14, v72
	v_addc_co_u32_e32 v71, vcc, 0, v73, vcc
	global_load_dword v80, v[70:71], off offset:512
	global_load_dword v81, v[70:71], off offset:1280
	global_load_dword v82, v54, s[6:7]
	global_load_dword v83, v[70:71], off offset:2816
	global_load_dword v84, v[70:71], off offset:3584
	v_add_co_u32_e32 v72, vcc, s12, v72
	v_addc_co_u32_e32 v73, vcc, 0, v73, vcc
	global_load_dword v54, v[72:73], off offset:256
	ds_read2st64_b32 v[70:71], v43 offset1:3
	s_movk_i32 s6, 0x1ff
	s_movk_i32 s7, 0xffe
	s_mul_i32 s12, s9, 0xc00
	s_waitcnt lgkmcnt(0)
	v_lshrrev_b32_e32 v72, 16, v70
	s_waitcnt vmcnt(11)
	v_mul_f16_sdwa v73, v70, v74 dst_sel:DWORD dst_unused:UNUSED_PAD src0_sel:DWORD src1_sel:WORD_1
	v_fma_f16 v73, v72, v74, v73
	v_mul_f16_sdwa v72, v72, v74 dst_sel:DWORD dst_unused:UNUSED_PAD src0_sel:DWORD src1_sel:WORD_1
	v_fma_f16 v70, v70, v74, -v72
	v_pack_b32_f16 v70, v70, v73
	ds_write_b32 v43, v70
	ds_read2st64_b32 v[72:73], v43 offset0:6 offset1:9
	v_lshrrev_b32_e32 v74, 16, v71
	s_waitcnt vmcnt(10)
	v_mul_f16_sdwa v70, v74, v75 dst_sel:DWORD dst_unused:UNUSED_PAD src0_sel:DWORD src1_sel:WORD_1
	v_fma_f16 v70, v71, v75, -v70
	v_mul_f16_sdwa v71, v71, v75 dst_sel:DWORD dst_unused:UNUSED_PAD src0_sel:DWORD src1_sel:WORD_1
	v_fma_f16 v71, v74, v75, v71
	s_waitcnt lgkmcnt(0)
	v_lshrrev_b32_e32 v74, 16, v72
	s_waitcnt vmcnt(9)
	v_mul_f16_sdwa v75, v72, v76 dst_sel:DWORD dst_unused:UNUSED_PAD src0_sel:DWORD src1_sel:WORD_1
	v_fma_f16 v75, v74, v76, v75
	v_mul_f16_sdwa v74, v74, v76 dst_sel:DWORD dst_unused:UNUSED_PAD src0_sel:DWORD src1_sel:WORD_1
	v_fma_f16 v72, v72, v76, -v74
	v_pack_b32_f16 v72, v72, v75
	v_pack_b32_f16 v70, v70, v71
	ds_write2st64_b32 v43, v70, v72 offset0:3 offset1:6
	ds_read2st64_b32 v[70:71], v43 offset0:12 offset1:15
	v_lshrrev_b32_e32 v72, 16, v73
	s_waitcnt vmcnt(8)
	v_mul_f16_sdwa v74, v72, v77 dst_sel:DWORD dst_unused:UNUSED_PAD src0_sel:DWORD src1_sel:WORD_1
	v_fma_f16 v74, v73, v77, -v74
	v_mul_f16_sdwa v73, v73, v77 dst_sel:DWORD dst_unused:UNUSED_PAD src0_sel:DWORD src1_sel:WORD_1
	v_fma_f16 v72, v72, v77, v73
	s_waitcnt lgkmcnt(0)
	v_lshrrev_b32_e32 v73, 16, v70
	s_waitcnt vmcnt(7)
	v_mul_f16_sdwa v75, v70, v78 dst_sel:DWORD dst_unused:UNUSED_PAD src0_sel:DWORD src1_sel:WORD_1
	v_fma_f16 v75, v73, v78, v75
	v_mul_f16_sdwa v73, v73, v78 dst_sel:DWORD dst_unused:UNUSED_PAD src0_sel:DWORD src1_sel:WORD_1
	v_fma_f16 v70, v70, v78, -v73
	v_pack_b32_f16 v70, v70, v75
	v_pack_b32_f16 v72, v74, v72
	ds_write2st64_b32 v43, v72, v70 offset0:9 offset1:12
	;; [unrolled: 17-line block ×5, first 2 shown]
	v_lshrrev_b32_e32 v70, 16, v73
	s_waitcnt vmcnt(0)
	v_mul_f16_sdwa v71, v70, v54 dst_sel:DWORD dst_unused:UNUSED_PAD src0_sel:DWORD src1_sel:WORD_1
	v_mul_f16_sdwa v72, v73, v54 dst_sel:DWORD dst_unused:UNUSED_PAD src0_sel:DWORD src1_sel:WORD_1
	v_fma_f16 v71, v73, v54, -v71
	v_fma_f16 v54, v70, v54, v72
	v_pack_b32_f16 v54, v71, v54
	ds_write_b32 v43, v54 offset:8448
	s_waitcnt lgkmcnt(0)
	s_barrier
	ds_read2st64_b32 v[70:71], v43 offset0:12 offset1:15
	ds_read2st64_b32 v[72:73], v43 offset0:24 offset1:27
	ds_read2st64_b32 v[74:75], v43 offset1:3
	ds_read2st64_b32 v[76:77], v43 offset0:18 offset1:21
	ds_read2st64_b32 v[78:79], v43 offset0:30 offset1:33
	;; [unrolled: 1-line block ×3, first 2 shown]
	s_waitcnt lgkmcnt(0)
	s_barrier
	v_pk_add_f16 v54, v70, v72
	v_pk_fma_f16 v54, v54, 0.5, v74 op_sel_hi:[1,0,1] neg_lo:[1,0,0] neg_hi:[1,0,0]
	v_pk_add_f16 v82, v70, v72 neg_lo:[0,1] neg_hi:[0,1]
	v_pk_fma_f16 v86, v82, s0, v54 op_sel:[0,0,1] op_sel_hi:[1,0,0] neg_lo:[1,0,0] neg_hi:[1,0,0]
	v_pk_fma_f16 v54, v82, s0, v54 op_sel:[0,0,1] op_sel_hi:[1,0,0]
	v_pk_add_f16 v82, v76, v78
	v_pk_fma_f16 v82, v82, 0.5, v80 op_sel_hi:[1,0,1] neg_lo:[1,0,0] neg_hi:[1,0,0]
	v_pk_add_f16 v83, v76, v78 neg_lo:[0,1] neg_hi:[0,1]
	v_pk_fma_f16 v84, v83, s0, v82 op_sel:[0,0,1] op_sel_hi:[1,0,0]
	v_pk_fma_f16 v82, v83, s0, v82 op_sel:[0,0,1] op_sel_hi:[1,0,0] neg_lo:[1,0,0] neg_hi:[1,0,0]
	v_lshrrev_b32_e32 v83, 16, v82
	v_mul_f16_e32 v85, 0xbaee, v84
	v_fma_f16 v87, v83, 0.5, v85
	v_pk_mul_f16 v83, v82, s0 op_sel_hi:[1,0]
	v_pk_add_f16 v70, v74, v70
	v_pk_fma_f16 v88, v84, s2, v83 op_sel:[0,0,1] op_sel_hi:[1,1,0]
	v_pk_fma_f16 v89, v84, s2, v83 op_sel:[0,0,1] op_sel_hi:[1,1,0] neg_lo:[0,0,1] neg_hi:[0,0,1]
	v_lshrrev_b32_e32 v83, 16, v84
	v_mul_f16_e32 v82, -0.5, v82
	v_pk_add_f16 v70, v70, v72
	v_pk_add_f16 v72, v80, v76
	v_fma_f16 v90, v83, s0, v82
	v_pk_add_f16 v72, v72, v78
	v_bfi_b32 v74, s1, v88, v89
	v_pk_add_f16 v74, v54, v74
	v_add_f16_e32 v76, v86, v90
	v_pk_add_f16 v83, v70, v72 neg_lo:[0,1] neg_hi:[0,1]
	v_pk_add_f16 v84, v70, v72
	v_add_f16_sdwa v70, v86, v87 dst_sel:DWORD dst_unused:UNUSED_PAD src0_sel:WORD_1 src1_sel:DWORD
	v_alignbit_b32 v82, v76, v74, 16
	v_pack_b32_f16 v85, v70, v74
	v_pack_b32_f16 v70, v87, v88
	v_alignbit_b32 v72, v54, v86, 16
	v_alignbit_b32 v54, v86, v54, 16
	;; [unrolled: 1-line block ×3, first 2 shown]
	ds_write2_b64 v57, v[84:85], v[82:83] offset1:1
	v_pk_add_f16 v82, v72, v70 neg_lo:[0,1] neg_hi:[0,1]
	v_pk_add_f16 v83, v54, v74 neg_lo:[0,1] neg_hi:[0,1]
	ds_write_b64 v57, v[82:83] offset:16
	v_pk_add_f16 v54, v75, v71
	v_pk_add_f16 v57, v71, v73
	v_pk_add_f16 v70, v71, v73 neg_lo:[0,1] neg_hi:[0,1]
	v_pk_add_f16 v71, v81, v77
	v_pk_add_f16 v72, v77, v79
	;; [unrolled: 1-line block ×3, first 2 shown]
	v_pk_add_f16 v73, v77, v79 neg_lo:[0,1] neg_hi:[0,1]
	v_pk_add_f16 v74, v71, v79
	v_pk_fma_f16 v57, v57, 0.5, v75 op_sel_hi:[1,0,1] neg_lo:[1,0,0] neg_hi:[1,0,0]
	v_pk_fma_f16 v71, v72, 0.5, v81 op_sel_hi:[1,0,1] neg_lo:[1,0,0] neg_hi:[1,0,0]
	v_pk_fma_f16 v75, v70, s0, v57 op_sel:[0,0,1] op_sel_hi:[1,0,0] neg_lo:[1,0,0] neg_hi:[1,0,0]
	v_pk_fma_f16 v57, v70, s0, v57 op_sel:[0,0,1] op_sel_hi:[1,0,0]
	v_pk_fma_f16 v70, v73, s0, v71 op_sel:[0,0,1] op_sel_hi:[1,0,0]
	v_pk_fma_f16 v71, v73, s0, v71 op_sel:[0,0,1] op_sel_hi:[1,0,0] neg_lo:[1,0,0] neg_hi:[1,0,0]
	v_lshrrev_b32_e32 v72, 16, v71
	v_mul_f16_e32 v73, 0xbaee, v70
	v_fma_f16 v76, v72, 0.5, v73
	v_pk_mul_f16 v72, v71, s0 op_sel_hi:[1,0]
	v_pk_fma_f16 v77, v70, s2, v72 op_sel:[0,0,1] op_sel_hi:[1,1,0]
	v_pk_fma_f16 v78, v70, s2, v72 op_sel:[0,0,1] op_sel_hi:[1,1,0] neg_lo:[0,0,1] neg_hi:[0,0,1]
	v_lshrrev_b32_e32 v70, 16, v70
	v_mul_f16_e32 v71, -0.5, v71
	v_fma_f16 v79, v70, s0, v71
	v_bfi_b32 v70, s1, v77, v78
	v_pk_add_f16 v73, v57, v70
	v_add_f16_e32 v70, v75, v79
	v_pk_add_f16 v71, v54, v74 neg_lo:[0,1] neg_hi:[0,1]
	v_pk_add_f16 v72, v54, v74
	v_add_f16_sdwa v54, v75, v76 dst_sel:DWORD dst_unused:UNUSED_PAD src0_sel:WORD_1 src1_sel:DWORD
	v_alignbit_b32 v70, v70, v73, 16
	v_pack_b32_f16 v73, v54, v73
	ds_write2_b64 v56, v[72:73], v[70:71] offset1:1
	v_pack_b32_f16 v54, v76, v77
	v_alignbit_b32 v70, v57, v75, 16
	v_alignbit_b32 v57, v75, v57, 16
	;; [unrolled: 1-line block ×3, first 2 shown]
	v_pk_add_f16 v70, v70, v54 neg_lo:[0,1] neg_hi:[0,1]
	v_pk_add_f16 v71, v57, v71 neg_lo:[0,1] neg_hi:[0,1]
	ds_write_b64 v56, v[70:71] offset:16
	s_waitcnt lgkmcnt(0)
	s_barrier
	ds_read2st64_b32 v[56:57], v43 offset0:6 offset1:9
	ds_read2st64_b32 v[70:71], v43 offset0:12 offset1:15
	s_mov_b32 s2, 0x1c71c71c
	s_mov_b32 s3, 0x3f3c71c7
	s_waitcnt lgkmcnt(1)
	v_lshrrev_b32_e32 v54, 16, v56
	v_mul_f16_sdwa v72, v0, v56 dst_sel:DWORD dst_unused:UNUSED_PAD src0_sel:WORD_1 src1_sel:DWORD
	v_fma_f16 v74, v0, v54, -v72
	v_mul_f16_sdwa v54, v0, v54 dst_sel:DWORD dst_unused:UNUSED_PAD src0_sel:WORD_1 src1_sel:DWORD
	v_fma_f16 v54, v0, v56, v54
	s_waitcnt lgkmcnt(0)
	v_lshrrev_b32_e32 v0, 16, v70
	ds_read2st64_b32 v[72:73], v43 offset0:18 offset1:21
	v_mul_f16_sdwa v56, v1, v70 dst_sel:DWORD dst_unused:UNUSED_PAD src0_sel:WORD_1 src1_sel:DWORD
	v_fma_f16 v56, v1, v0, -v56
	v_mul_f16_sdwa v0, v1, v0 dst_sel:DWORD dst_unused:UNUSED_PAD src0_sel:WORD_1 src1_sel:DWORD
	v_fma_f16 v70, v1, v70, v0
	ds_read2st64_b32 v[0:1], v43 offset0:24 offset1:27
	s_waitcnt lgkmcnt(1)
	v_lshrrev_b32_e32 v75, 16, v72
	v_mul_f16_sdwa v76, v2, v72 dst_sel:DWORD dst_unused:UNUSED_PAD src0_sel:WORD_1 src1_sel:DWORD
	v_fma_f16 v76, v2, v75, -v76
	v_mul_f16_sdwa v75, v2, v75 dst_sel:DWORD dst_unused:UNUSED_PAD src0_sel:WORD_1 src1_sel:DWORD
	v_fma_f16 v72, v2, v72, v75
	s_waitcnt lgkmcnt(0)
	v_lshrrev_b32_e32 v2, 16, v0
	v_mul_f16_sdwa v75, v3, v0 dst_sel:DWORD dst_unused:UNUSED_PAD src0_sel:WORD_1 src1_sel:DWORD
	v_fma_f16 v75, v3, v2, -v75
	v_mul_f16_sdwa v2, v3, v2 dst_sel:DWORD dst_unused:UNUSED_PAD src0_sel:WORD_1 src1_sel:DWORD
	v_fma_f16 v77, v3, v0, v2
	v_lshrrev_b32_e32 v0, 16, v57
	v_mul_f16_sdwa v2, v4, v0 dst_sel:DWORD dst_unused:UNUSED_PAD src0_sel:WORD_1 src1_sel:DWORD
	v_fma_f16 v78, v4, v57, v2
	v_mul_f16_sdwa v2, v4, v57 dst_sel:DWORD dst_unused:UNUSED_PAD src0_sel:WORD_1 src1_sel:DWORD
	v_fma_f16 v4, v4, v0, -v2
	v_lshrrev_b32_e32 v0, 16, v71
	v_mul_f16_sdwa v2, v5, v0 dst_sel:DWORD dst_unused:UNUSED_PAD src0_sel:WORD_1 src1_sel:DWORD
	v_fma_f16 v57, v5, v71, v2
	v_mul_f16_sdwa v2, v5, v71 dst_sel:DWORD dst_unused:UNUSED_PAD src0_sel:WORD_1 src1_sel:DWORD
	v_fma_f16 v5, v5, v0, -v2
	;; [unrolled: 5-line block ×3, first 2 shown]
	v_lshrrev_b32_e32 v0, 16, v1
	ds_read2st64_b32 v[2:3], v43 offset0:30 offset1:33
	v_mul_f16_sdwa v73, v7, v0 dst_sel:DWORD dst_unused:UNUSED_PAD src0_sel:WORD_1 src1_sel:DWORD
	v_fma_f16 v73, v7, v1, v73
	v_mul_f16_sdwa v1, v7, v1 dst_sel:DWORD dst_unused:UNUSED_PAD src0_sel:WORD_1 src1_sel:DWORD
	v_fma_f16 v7, v7, v0, -v1
	ds_read2st64_b32 v[0:1], v43 offset1:3
	s_waitcnt lgkmcnt(1)
	v_lshrrev_b32_e32 v79, 16, v2
	v_mul_f16_sdwa v80, v55, v2 dst_sel:DWORD dst_unused:UNUSED_PAD src0_sel:WORD_1 src1_sel:DWORD
	v_fma_f16 v80, v55, v79, -v80
	v_mul_f16_sdwa v79, v55, v79 dst_sel:DWORD dst_unused:UNUSED_PAD src0_sel:WORD_1 src1_sel:DWORD
	v_fma_f16 v2, v55, v2, v79
	s_waitcnt lgkmcnt(0)
	v_lshrrev_b32_e32 v55, 16, v0
	v_add_f16_e32 v79, v55, v56
	v_sub_f16_e32 v81, v56, v75
	v_add_f16_e32 v56, v56, v75
	v_fma_f16 v55, v56, -0.5, v55
	v_add_f16_e32 v56, v0, v70
	v_add_f16_e32 v79, v79, v75
	;; [unrolled: 1-line block ×4, first 2 shown]
	v_sub_f16_e32 v70, v70, v77
	v_add_f16_e32 v77, v74, v76
	v_sub_f16_e32 v82, v76, v80
	v_add_f16_e32 v76, v76, v80
	v_fma_f16 v74, v76, -0.5, v74
	v_add_f16_e32 v76, v72, v2
	v_fma_f16 v76, v76, -0.5, v54
	v_add_f16_e32 v54, v54, v72
	v_add_f16_e32 v54, v54, v2
	v_sub_f16_e32 v2, v72, v2
	v_add_f16_e32 v77, v77, v80
	v_fma_f16 v80, v2, s0, v74
	v_fma_f16 v72, v82, s13, v76
	v_mul_f16_e32 v83, 0xbaee, v80
	v_mul_f16_e32 v80, 0.5, v80
	v_fma_f16 v83, v72, 0.5, v83
	v_fma_f16 v72, v72, s0, v80
	v_add_f16_e32 v80, v56, v54
	v_add_f16_e32 v84, v79, v77
	v_fma_f16 v2, v2, s13, v74
	v_pack_b32_f16 v80, v80, v84
	v_fma_f16 v0, v75, -0.5, v0
	v_fma_f16 v84, v70, s0, v55
	v_fma_f16 v55, v70, s13, v55
	;; [unrolled: 1-line block ×3, first 2 shown]
	v_mul_f16_e32 v74, 0xbaee, v2
	v_mul_f16_e32 v2, -0.5, v2
	v_fma_f16 v75, v81, s13, v0
	v_fma_f16 v0, v81, s0, v0
	v_fma_f16 v74, v70, -0.5, v74
	v_fma_f16 v2, v70, s0, v2
	v_sub_f16_e32 v54, v56, v54
	v_sub_f16_e32 v56, v79, v77
	v_add_f16_e32 v70, v0, v74
	v_add_f16_e32 v76, v55, v2
	v_pack_b32_f16 v70, v70, v76
	v_pack_b32_f16 v54, v54, v56
	s_barrier
	ds_write2_b32 v59, v70, v54 offset0:12 offset1:18
	v_sub_f16_e32 v54, v75, v83
	v_sub_f16_e32 v0, v0, v74
	;; [unrolled: 1-line block ×4, first 2 shown]
	v_pack_b32_f16 v54, v54, v56
	v_pack_b32_f16 v0, v0, v2
	ds_write2_b32 v59, v54, v0 offset0:24 offset1:30
	v_lshrrev_b32_e32 v0, 16, v3
	v_mul_f16_sdwa v2, v58, v0 dst_sel:DWORD dst_unused:UNUSED_PAD src0_sel:WORD_1 src1_sel:DWORD
	v_lshrrev_b32_e32 v54, 16, v1
	v_fma_f16 v2, v58, v3, v2
	v_mul_f16_sdwa v3, v58, v3 dst_sel:DWORD dst_unused:UNUSED_PAD src0_sel:WORD_1 src1_sel:DWORD
	v_add_f16_e32 v55, v54, v5
	v_sub_f16_e32 v56, v5, v7
	v_add_f16_e32 v5, v5, v7
	v_fma_f16 v0, v58, v0, -v3
	v_add_f16_e32 v3, v57, v73
	v_fma_f16 v5, v5, -0.5, v54
	v_add_f16_e32 v54, v4, v6
	v_add_f16_e32 v85, v75, v83
	;; [unrolled: 1-line block ×3, first 2 shown]
	v_fma_f16 v3, v3, -0.5, v1
	v_add_f16_e32 v1, v1, v57
	v_add_f16_e32 v55, v55, v7
	v_sub_f16_e32 v7, v57, v73
	v_add_f16_e32 v54, v54, v0
	v_sub_f16_e32 v57, v6, v0
	v_add_f16_e32 v0, v6, v0
	v_add_f16_e32 v6, v78, v71
	v_pack_b32_f16 v85, v85, v86
	v_fma_f16 v0, v0, -0.5, v4
	v_add_f16_e32 v4, v71, v2
	v_add_f16_e32 v6, v6, v2
	v_sub_f16_e32 v2, v71, v2
	ds_write2_b32 v59, v80, v85 offset1:6
	v_fma_f16 v4, v4, -0.5, v78
	v_fma_f16 v59, v2, s0, v0
	v_add_f16_e32 v1, v1, v73
	v_fma_f16 v58, v57, s13, v4
	v_mul_f16_e32 v70, 0xbaee, v59
	v_mul_f16_e32 v59, 0.5, v59
	v_fma_f16 v0, v2, s13, v0
	v_fma_f16 v70, v58, 0.5, v70
	v_fma_f16 v58, v58, s0, v59
	v_add_f16_e32 v59, v1, v6
	v_add_f16_e32 v71, v55, v54
	v_fma_f16 v4, v57, s0, v4
	v_mul_f16_e32 v2, 0xbaee, v0
	v_mul_f16_e32 v0, -0.5, v0
	v_pack_b32_f16 v59, v59, v71
	v_fma_f16 v71, v56, s13, v3
	v_fma_f16 v72, v7, s0, v5
	;; [unrolled: 1-line block ×4, first 2 shown]
	v_fma_f16 v2, v4, -0.5, v2
	v_fma_f16 v0, v4, s0, v0
	v_sub_f16_e32 v1, v1, v6
	v_sub_f16_e32 v4, v55, v54
	v_add_f16_e32 v6, v3, v2
	v_add_f16_e32 v7, v5, v0
	v_pack_b32_f16 v6, v6, v7
	v_pack_b32_f16 v1, v1, v4
	v_add_f16_e32 v73, v71, v70
	v_add_f16_e32 v74, v72, v58
	ds_write2_b32 v60, v6, v1 offset0:12 offset1:18
	v_sub_f16_e32 v1, v71, v70
	v_sub_f16_e32 v2, v3, v2
	;; [unrolled: 1-line block ×4, first 2 shown]
	v_pack_b32_f16 v73, v73, v74
	v_pack_b32_f16 v1, v1, v3
	;; [unrolled: 1-line block ×3, first 2 shown]
	ds_write2_b32 v60, v59, v73 offset1:6
	ds_write2_b32 v60, v1, v0 offset0:24 offset1:30
	s_waitcnt lgkmcnt(0)
	s_barrier
	ds_read2st64_b32 v[0:1], v43 offset0:12 offset1:15
	ds_read2st64_b32 v[2:3], v43 offset0:18 offset1:21
	s_waitcnt lgkmcnt(1)
	v_lshrrev_b32_e32 v4, 16, v0
	v_mul_f16_sdwa v5, v11, v0 dst_sel:DWORD dst_unused:UNUSED_PAD src0_sel:WORD_1 src1_sel:DWORD
	v_fma_f16 v6, v11, v4, -v5
	v_mul_f16_sdwa v4, v11, v4 dst_sel:DWORD dst_unused:UNUSED_PAD src0_sel:WORD_1 src1_sel:DWORD
	v_fma_f16 v7, v11, v0, v4
	ds_read2st64_b32 v[4:5], v43 offset0:30 offset1:33
	s_waitcnt lgkmcnt(1)
	v_lshrrev_b32_e32 v0, 16, v3
	v_mul_f16_sdwa v11, v12, v3 dst_sel:DWORD dst_unused:UNUSED_PAD src0_sel:WORD_1 src1_sel:DWORD
	v_fma_f16 v11, v12, v0, -v11
	v_mul_f16_sdwa v0, v12, v0 dst_sel:DWORD dst_unused:UNUSED_PAD src0_sel:WORD_1 src1_sel:DWORD
	v_fma_f16 v12, v12, v3, v0
	s_waitcnt lgkmcnt(0)
	v_lshrrev_b32_e32 v0, 16, v4
	v_mul_f16_sdwa v3, v13, v4 dst_sel:DWORD dst_unused:UNUSED_PAD src0_sel:WORD_1 src1_sel:DWORD
	v_fma_f16 v54, v13, v0, -v3
	v_mul_f16_sdwa v0, v13, v0 dst_sel:DWORD dst_unused:UNUSED_PAD src0_sel:WORD_1 src1_sel:DWORD
	v_fma_f16 v4, v13, v4, v0
	v_lshrrev_b32_e32 v0, 16, v1
	v_mul_f16_sdwa v3, v14, v0 dst_sel:DWORD dst_unused:UNUSED_PAD src0_sel:WORD_1 src1_sel:DWORD
	v_fma_f16 v13, v14, v1, v3
	v_mul_f16_sdwa v1, v14, v1 dst_sel:DWORD dst_unused:UNUSED_PAD src0_sel:WORD_1 src1_sel:DWORD
	v_fma_f16 v14, v14, v0, -v1
	ds_read2st64_b32 v[0:1], v43 offset0:24 offset1:27
	v_lshrrev_b32_e32 v3, 16, v5
	v_mul_f16_sdwa v55, v16, v3 dst_sel:DWORD dst_unused:UNUSED_PAD src0_sel:WORD_1 src1_sel:DWORD
	v_fma_f16 v55, v16, v5, v55
	v_mul_f16_sdwa v5, v16, v5 dst_sel:DWORD dst_unused:UNUSED_PAD src0_sel:WORD_1 src1_sel:DWORD
	v_fma_f16 v5, v16, v3, -v5
	s_waitcnt lgkmcnt(0)
	v_lshrrev_b32_e32 v3, 16, v0
	v_mul_f16_sdwa v16, v15, v0 dst_sel:DWORD dst_unused:UNUSED_PAD src0_sel:WORD_1 src1_sel:DWORD
	v_fma_f16 v16, v15, v3, -v16
	v_mul_f16_sdwa v3, v15, v3 dst_sel:DWORD dst_unused:UNUSED_PAD src0_sel:WORD_1 src1_sel:DWORD
	v_fma_f16 v15, v15, v0, v3
	v_lshrrev_b32_e32 v0, 16, v2
	v_mul_f16_sdwa v3, v9, v0 dst_sel:DWORD dst_unused:UNUSED_PAD src0_sel:WORD_1 src1_sel:DWORD
	v_fma_f16 v56, v9, v2, v3
	v_mul_f16_sdwa v2, v9, v2 dst_sel:DWORD dst_unused:UNUSED_PAD src0_sel:WORD_1 src1_sel:DWORD
	v_fma_f16 v9, v9, v0, -v2
	v_lshrrev_b32_e32 v0, 16, v1
	ds_read2st64_b32 v[2:3], v43 offset0:6 offset1:9
	v_mul_f16_sdwa v57, v10, v0 dst_sel:DWORD dst_unused:UNUSED_PAD src0_sel:WORD_1 src1_sel:DWORD
	v_fma_f16 v57, v10, v1, v57
	v_mul_f16_sdwa v1, v10, v1 dst_sel:DWORD dst_unused:UNUSED_PAD src0_sel:WORD_1 src1_sel:DWORD
	v_fma_f16 v10, v10, v0, -v1
	ds_read2st64_b32 v[0:1], v43 offset1:3
	s_waitcnt lgkmcnt(1)
	v_lshrrev_b32_e32 v58, 16, v3
	v_mul_f16_sdwa v59, v8, v3 dst_sel:DWORD dst_unused:UNUSED_PAD src0_sel:WORD_1 src1_sel:DWORD
	v_fma_f16 v59, v8, v58, -v59
	v_mul_f16_sdwa v58, v8, v58 dst_sel:DWORD dst_unused:UNUSED_PAD src0_sel:WORD_1 src1_sel:DWORD
	v_fma_f16 v3, v8, v3, v58
	s_waitcnt lgkmcnt(0)
	v_sub_f16_e32 v8, v0, v56
	v_lshrrev_b32_e32 v56, 16, v0
	v_sub_f16_e32 v9, v56, v9
	v_sub_f16_e32 v57, v3, v57
	;; [unrolled: 1-line block ×3, first 2 shown]
	v_fma_f16 v56, v56, 2.0, -v9
	v_fma_f16 v3, v3, 2.0, -v57
	;; [unrolled: 1-line block ×4, first 2 shown]
	v_sub_f16_e32 v3, v0, v3
	v_sub_f16_e32 v58, v56, v58
	v_fma_f16 v0, v0, 2.0, -v3
	v_fma_f16 v56, v56, 2.0, -v58
	v_pack_b32_f16 v0, v0, v56
	v_add_f16_e32 v10, v8, v10
	v_sub_f16_e32 v56, v9, v57
	v_fma_f16 v8, v8, 2.0, -v10
	v_fma_f16 v9, v9, 2.0, -v56
	v_pack_b32_f16 v8, v8, v9
	s_barrier
	ds_write2_b32 v61, v0, v8 offset1:36
	v_pack_b32_f16 v0, v3, v58
	v_pack_b32_f16 v3, v10, v56
	ds_write2_b32 v61, v0, v3 offset0:72 offset1:108
	v_lshrrev_b32_e32 v3, 16, v1
	v_sub_f16_e32 v0, v1, v12
	v_sub_f16_e32 v8, v3, v11
	;; [unrolled: 1-line block ×4, first 2 shown]
	v_fma_f16 v1, v1, 2.0, -v0
	v_fma_f16 v3, v3, 2.0, -v8
	;; [unrolled: 1-line block ×4, first 2 shown]
	v_sub_f16_e32 v7, v1, v7
	v_sub_f16_e32 v6, v3, v6
	v_fma_f16 v1, v1, 2.0, -v7
	v_fma_f16 v3, v3, 2.0, -v6
	v_pack_b32_f16 v1, v1, v3
	v_add_f16_e32 v3, v0, v9
	v_sub_f16_e32 v4, v8, v4
	v_fma_f16 v0, v0, 2.0, -v3
	v_fma_f16 v8, v8, 2.0, -v4
	v_pack_b32_f16 v0, v0, v8
	ds_write2_b32 v62, v1, v0 offset1:36
	v_pack_b32_f16 v0, v7, v6
	v_pack_b32_f16 v1, v3, v4
	ds_write2_b32 v62, v0, v1 offset0:72 offset1:108
	v_lshrrev_b32_e32 v1, 16, v2
	v_sub_f16_e32 v0, v2, v15
	v_sub_f16_e32 v3, v1, v16
	;; [unrolled: 1-line block ×4, first 2 shown]
	v_fma_f16 v2, v2, 2.0, -v0
	v_fma_f16 v1, v1, 2.0, -v3
	;; [unrolled: 1-line block ×4, first 2 shown]
	v_sub_f16_e32 v6, v2, v6
	v_sub_f16_e32 v7, v1, v7
	v_fma_f16 v2, v2, 2.0, -v6
	v_fma_f16 v1, v1, 2.0, -v7
	v_pack_b32_f16 v1, v2, v1
	v_add_f16_e32 v2, v0, v5
	v_sub_f16_e32 v4, v3, v4
	v_fma_f16 v0, v0, 2.0, -v2
	v_fma_f16 v3, v3, 2.0, -v4
	v_pack_b32_f16 v0, v0, v3
	ds_write2_b32 v63, v1, v0 offset1:36
	v_pack_b32_f16 v0, v6, v7
	v_pack_b32_f16 v1, v2, v4
	ds_write2_b32 v63, v0, v1 offset0:72 offset1:108
	s_waitcnt lgkmcnt(0)
	s_barrier
	ds_read2st64_b32 v[0:1], v43 offset0:12 offset1:15
	ds_read2st64_b32 v[2:3], v43 offset0:18 offset1:21
	s_waitcnt lgkmcnt(1)
	v_lshrrev_b32_e32 v4, 16, v0
	v_mul_f16_sdwa v5, v26, v0 dst_sel:DWORD dst_unused:UNUSED_PAD src0_sel:WORD_1 src1_sel:DWORD
	v_fma_f16 v6, v26, v4, -v5
	v_mul_f16_sdwa v4, v26, v4 dst_sel:DWORD dst_unused:UNUSED_PAD src0_sel:WORD_1 src1_sel:DWORD
	v_fma_f16 v7, v26, v0, v4
	ds_read2st64_b32 v[4:5], v43 offset0:30 offset1:33
	s_waitcnt lgkmcnt(1)
	v_lshrrev_b32_e32 v0, 16, v3
	v_mul_f16_sdwa v8, v27, v3 dst_sel:DWORD dst_unused:UNUSED_PAD src0_sel:WORD_1 src1_sel:DWORD
	v_fma_f16 v8, v27, v0, -v8
	v_mul_f16_sdwa v0, v27, v0 dst_sel:DWORD dst_unused:UNUSED_PAD src0_sel:WORD_1 src1_sel:DWORD
	v_fma_f16 v9, v27, v3, v0
	s_waitcnt lgkmcnt(0)
	v_lshrrev_b32_e32 v0, 16, v4
	v_mul_f16_sdwa v3, v28, v4 dst_sel:DWORD dst_unused:UNUSED_PAD src0_sel:WORD_1 src1_sel:DWORD
	v_fma_f16 v10, v28, v0, -v3
	v_mul_f16_sdwa v0, v28, v0 dst_sel:DWORD dst_unused:UNUSED_PAD src0_sel:WORD_1 src1_sel:DWORD
	v_fma_f16 v4, v28, v4, v0
	v_lshrrev_b32_e32 v0, 16, v1
	v_mul_f16_sdwa v3, v29, v0 dst_sel:DWORD dst_unused:UNUSED_PAD src0_sel:WORD_1 src1_sel:DWORD
	v_fma_f16 v11, v29, v1, v3
	v_mul_f16_sdwa v1, v29, v1 dst_sel:DWORD dst_unused:UNUSED_PAD src0_sel:WORD_1 src1_sel:DWORD
	v_fma_f16 v12, v29, v0, -v1
	ds_read2st64_b32 v[0:1], v43 offset0:24 offset1:27
	v_lshrrev_b32_e32 v3, 16, v5
	v_mul_f16_sdwa v13, v31, v3 dst_sel:DWORD dst_unused:UNUSED_PAD src0_sel:WORD_1 src1_sel:DWORD
	v_fma_f16 v13, v31, v5, v13
	v_mul_f16_sdwa v5, v31, v5 dst_sel:DWORD dst_unused:UNUSED_PAD src0_sel:WORD_1 src1_sel:DWORD
	v_fma_f16 v5, v31, v3, -v5
	s_waitcnt lgkmcnt(0)
	v_lshrrev_b32_e32 v3, 16, v0
	v_mul_f16_sdwa v14, v30, v0 dst_sel:DWORD dst_unused:UNUSED_PAD src0_sel:WORD_1 src1_sel:DWORD
	v_fma_f16 v14, v30, v3, -v14
	v_mul_f16_sdwa v3, v30, v3 dst_sel:DWORD dst_unused:UNUSED_PAD src0_sel:WORD_1 src1_sel:DWORD
	v_fma_f16 v15, v30, v0, v3
	v_lshrrev_b32_e32 v0, 16, v2
	v_mul_f16_sdwa v3, v18, v0 dst_sel:DWORD dst_unused:UNUSED_PAD src0_sel:WORD_1 src1_sel:DWORD
	v_fma_f16 v16, v18, v2, v3
	v_mul_f16_sdwa v2, v18, v2 dst_sel:DWORD dst_unused:UNUSED_PAD src0_sel:WORD_1 src1_sel:DWORD
	v_fma_f16 v18, v18, v0, -v2
	v_lshrrev_b32_e32 v0, 16, v1
	ds_read2st64_b32 v[2:3], v43 offset0:6 offset1:9
	v_mul_f16_sdwa v26, v19, v0 dst_sel:DWORD dst_unused:UNUSED_PAD src0_sel:WORD_1 src1_sel:DWORD
	v_fma_f16 v26, v19, v1, v26
	v_mul_f16_sdwa v1, v19, v1 dst_sel:DWORD dst_unused:UNUSED_PAD src0_sel:WORD_1 src1_sel:DWORD
	v_fma_f16 v19, v19, v0, -v1
	ds_read2st64_b32 v[0:1], v43 offset1:3
	s_waitcnt lgkmcnt(1)
	v_lshrrev_b32_e32 v27, 16, v3
	v_mul_f16_sdwa v28, v17, v3 dst_sel:DWORD dst_unused:UNUSED_PAD src0_sel:WORD_1 src1_sel:DWORD
	v_fma_f16 v28, v17, v27, -v28
	v_mul_f16_sdwa v27, v17, v27 dst_sel:DWORD dst_unused:UNUSED_PAD src0_sel:WORD_1 src1_sel:DWORD
	v_fma_f16 v3, v17, v3, v27
	s_waitcnt lgkmcnt(0)
	v_lshrrev_b32_e32 v17, 16, v0
	v_sub_f16_e32 v16, v0, v16
	v_sub_f16_e32 v18, v17, v18
	;; [unrolled: 1-line block ×4, first 2 shown]
	v_fma_f16 v17, v17, 2.0, -v18
	v_fma_f16 v3, v3, 2.0, -v26
	;; [unrolled: 1-line block ×4, first 2 shown]
	v_sub_f16_e32 v3, v0, v3
	v_sub_f16_e32 v27, v17, v27
	v_fma_f16 v0, v0, 2.0, -v3
	v_fma_f16 v17, v17, 2.0, -v27
	v_pack_b32_f16 v0, v0, v17
	v_add_f16_e32 v17, v16, v19
	v_sub_f16_e32 v19, v18, v26
	v_fma_f16 v16, v16, 2.0, -v17
	v_fma_f16 v18, v18, 2.0, -v19
	v_pack_b32_f16 v16, v16, v18
	s_barrier
	ds_write2_b32 v64, v0, v16 offset1:144
	v_pack_b32_f16 v0, v3, v27
	v_pack_b32_f16 v3, v17, v19
	ds_write2_b32 v65, v0, v3 offset0:32 offset1:176
	v_lshrrev_b32_e32 v3, 16, v1
	v_sub_f16_e32 v0, v1, v9
	v_sub_f16_e32 v8, v3, v8
	;; [unrolled: 1-line block ×4, first 2 shown]
	v_fma_f16 v1, v1, 2.0, -v0
	v_fma_f16 v3, v3, 2.0, -v8
	;; [unrolled: 1-line block ×4, first 2 shown]
	v_sub_f16_e32 v7, v1, v7
	v_sub_f16_e32 v6, v3, v6
	v_fma_f16 v1, v1, 2.0, -v7
	v_fma_f16 v3, v3, 2.0, -v6
	v_pack_b32_f16 v1, v1, v3
	v_add_f16_e32 v3, v0, v9
	v_sub_f16_e32 v4, v8, v4
	v_fma_f16 v0, v0, 2.0, -v3
	v_fma_f16 v8, v8, 2.0, -v4
	v_pack_b32_f16 v0, v0, v8
	ds_write2_b32 v66, v1, v0 offset1:144
	v_pack_b32_f16 v0, v7, v6
	v_pack_b32_f16 v1, v3, v4
	ds_write2_b32 v67, v0, v1 offset0:32 offset1:176
	v_lshrrev_b32_e32 v1, 16, v2
	v_sub_f16_e32 v0, v2, v15
	v_sub_f16_e32 v3, v1, v14
	;; [unrolled: 1-line block ×4, first 2 shown]
	v_fma_f16 v2, v2, 2.0, -v0
	v_fma_f16 v1, v1, 2.0, -v3
	;; [unrolled: 1-line block ×4, first 2 shown]
	v_sub_f16_e32 v6, v2, v6
	v_sub_f16_e32 v7, v1, v7
	v_fma_f16 v2, v2, 2.0, -v6
	v_fma_f16 v1, v1, 2.0, -v7
	v_pack_b32_f16 v1, v2, v1
	v_add_f16_e32 v2, v0, v5
	v_sub_f16_e32 v4, v3, v4
	v_fma_f16 v0, v0, 2.0, -v2
	v_fma_f16 v3, v3, 2.0, -v4
	v_pack_b32_f16 v0, v0, v3
	ds_write2_b32 v68, v1, v0 offset1:144
	v_pack_b32_f16 v0, v6, v7
	v_pack_b32_f16 v1, v2, v4
	ds_write2_b32 v69, v0, v1 offset0:32 offset1:176
	s_waitcnt lgkmcnt(0)
	s_barrier
	ds_read2st64_b32 v[0:1], v43 offset0:12 offset1:15
	ds_read2st64_b32 v[2:3], v43 offset0:18 offset1:21
	s_waitcnt lgkmcnt(1)
	v_lshrrev_b32_e32 v4, 16, v0
	v_mul_f16_sdwa v5, v23, v0 dst_sel:DWORD dst_unused:UNUSED_PAD src0_sel:WORD_1 src1_sel:DWORD
	v_fma_f16 v7, v23, v4, -v5
	v_mul_f16_sdwa v4, v23, v4 dst_sel:DWORD dst_unused:UNUSED_PAD src0_sel:WORD_1 src1_sel:DWORD
	v_fma_f16 v8, v23, v0, v4
	ds_read2st64_b32 v[4:5], v43 offset0:30 offset1:33
	s_waitcnt lgkmcnt(1)
	v_lshrrev_b32_e32 v6, 16, v3
	v_mul_f16_sdwa v0, v24, v3 dst_sel:DWORD dst_unused:UNUSED_PAD src0_sel:WORD_1 src1_sel:DWORD
	v_fma_f16 v9, v24, v6, -v0
	v_mul_f16_sdwa v0, v24, v6 dst_sel:DWORD dst_unused:UNUSED_PAD src0_sel:WORD_1 src1_sel:DWORD
	v_fma_f16 v6, v24, v3, v0
	s_waitcnt lgkmcnt(0)
	v_lshrrev_b32_e32 v0, 16, v4
	v_mul_f16_sdwa v3, v25, v4 dst_sel:DWORD dst_unused:UNUSED_PAD src0_sel:WORD_1 src1_sel:DWORD
	v_fma_f16 v10, v25, v0, -v3
	v_mul_f16_sdwa v0, v25, v0 dst_sel:DWORD dst_unused:UNUSED_PAD src0_sel:WORD_1 src1_sel:DWORD
	v_fma_f16 v4, v25, v4, v0
	v_lshrrev_b32_e32 v0, 16, v1
	v_mul_f16_sdwa v3, v32, v0 dst_sel:DWORD dst_unused:UNUSED_PAD src0_sel:WORD_1 src1_sel:DWORD
	v_fma_f16 v11, v32, v1, v3
	v_mul_f16_sdwa v1, v32, v1 dst_sel:DWORD dst_unused:UNUSED_PAD src0_sel:WORD_1 src1_sel:DWORD
	v_fma_f16 v12, v32, v0, -v1
	ds_read2st64_b32 v[0:1], v43 offset0:24 offset1:27
	v_lshrrev_b32_e32 v3, 16, v5
	v_mul_f16_sdwa v13, v34, v3 dst_sel:DWORD dst_unused:UNUSED_PAD src0_sel:WORD_1 src1_sel:DWORD
	v_fma_f16 v13, v34, v5, v13
	v_mul_f16_sdwa v5, v34, v5 dst_sel:DWORD dst_unused:UNUSED_PAD src0_sel:WORD_1 src1_sel:DWORD
	v_fma_f16 v5, v34, v3, -v5
	s_waitcnt lgkmcnt(0)
	v_lshrrev_b32_e32 v3, 16, v0
	v_mul_f16_sdwa v14, v33, v0 dst_sel:DWORD dst_unused:UNUSED_PAD src0_sel:WORD_1 src1_sel:DWORD
	v_fma_f16 v14, v33, v3, -v14
	v_mul_f16_sdwa v3, v33, v3 dst_sel:DWORD dst_unused:UNUSED_PAD src0_sel:WORD_1 src1_sel:DWORD
	v_fma_f16 v15, v33, v0, v3
	v_lshrrev_b32_e32 v0, 16, v2
	v_mul_f16_sdwa v3, v21, v0 dst_sel:DWORD dst_unused:UNUSED_PAD src0_sel:WORD_1 src1_sel:DWORD
	v_fma_f16 v16, v21, v2, v3
	v_mul_f16_sdwa v2, v21, v2 dst_sel:DWORD dst_unused:UNUSED_PAD src0_sel:WORD_1 src1_sel:DWORD
	v_fma_f16 v17, v21, v0, -v2
	v_lshrrev_b32_e32 v0, 16, v1
	ds_read2st64_b32 v[2:3], v43 offset0:6 offset1:9
	v_mul_f16_sdwa v18, v22, v0 dst_sel:DWORD dst_unused:UNUSED_PAD src0_sel:WORD_1 src1_sel:DWORD
	v_fma_f16 v18, v22, v1, v18
	v_mul_f16_sdwa v1, v22, v1 dst_sel:DWORD dst_unused:UNUSED_PAD src0_sel:WORD_1 src1_sel:DWORD
	v_fma_f16 v19, v22, v0, -v1
	ds_read2st64_b32 v[0:1], v43 offset1:3
	s_waitcnt lgkmcnt(1)
	v_lshrrev_b32_e32 v21, 16, v3
	v_mul_f16_sdwa v22, v20, v3 dst_sel:DWORD dst_unused:UNUSED_PAD src0_sel:WORD_1 src1_sel:DWORD
	v_fma_f16 v22, v20, v21, -v22
	v_mul_f16_sdwa v21, v20, v21 dst_sel:DWORD dst_unused:UNUSED_PAD src0_sel:WORD_1 src1_sel:DWORD
	v_fma_f16 v3, v20, v3, v21
	s_waitcnt lgkmcnt(0)
	v_lshrrev_b32_e32 v20, 16, v0
	v_sub_f16_e32 v16, v0, v16
	v_sub_f16_e32 v17, v20, v17
	;; [unrolled: 1-line block ×4, first 2 shown]
	v_fma_f16 v0, v0, 2.0, -v16
	v_fma_f16 v20, v20, 2.0, -v17
	;; [unrolled: 1-line block ×4, first 2 shown]
	v_sub_f16_e32 v3, v0, v3
	v_sub_f16_e32 v22, v20, v22
	v_fma_f16 v0, v0, 2.0, -v3
	v_add_f16_e32 v19, v16, v19
	v_sub_f16_e32 v18, v17, v18
	v_pack_b32_f16 v3, v3, v22
	v_lshrrev_b32_e32 v21, 16, v1
	ds_write_b32 v43, v3 offset:4608
	v_pack_b32_f16 v3, v19, v18
	v_sub_f16_e32 v6, v1, v6
	ds_write_b32 v43, v3 offset:6912
	v_sub_f16_e32 v3, v21, v9
	v_sub_f16_e32 v4, v8, v4
	;; [unrolled: 1-line block ×3, first 2 shown]
	v_fma_f16 v1, v1, 2.0, -v6
	v_fma_f16 v9, v21, 2.0, -v3
	;; [unrolled: 1-line block ×4, first 2 shown]
	v_sub_f16_e32 v8, v1, v8
	v_sub_f16_e32 v7, v9, v7
	v_lshrrev_b32_e32 v23, 16, v2
	v_fma_f16 v1, v1, 2.0, -v8
	v_fma_f16 v9, v9, 2.0, -v7
	v_sub_f16_e32 v15, v2, v15
	v_pack_b32_f16 v1, v1, v9
	v_add_f16_e32 v9, v6, v10
	v_sub_f16_e32 v10, v23, v14
	v_sub_f16_e32 v13, v11, v13
	;; [unrolled: 1-line block ×3, first 2 shown]
	v_fma_f16 v2, v2, 2.0, -v15
	v_fma_f16 v14, v23, 2.0, -v10
	;; [unrolled: 1-line block ×4, first 2 shown]
	v_sub_f16_e32 v11, v2, v11
	v_sub_f16_e32 v12, v14, v12
	v_fma_f16 v20, v20, 2.0, -v22
	v_fma_f16 v16, v16, 2.0, -v19
	;; [unrolled: 1-line block ×3, first 2 shown]
	v_sub_f16_e32 v4, v3, v4
	v_fma_f16 v2, v2, 2.0, -v11
	v_fma_f16 v14, v14, 2.0, -v12
	v_add_f16_e32 v5, v15, v5
	v_sub_f16_e32 v13, v10, v13
	v_pack_b32_f16 v0, v0, v20
	v_pack_b32_f16 v16, v16, v17
	v_fma_f16 v6, v6, 2.0, -v9
	v_fma_f16 v3, v3, 2.0, -v4
	;; [unrolled: 1-line block ×4, first 2 shown]
	v_pack_b32_f16 v2, v2, v14
	ds_write_b32 v43, v16 offset:2304
	ds_write2st64_b32 v43, v0, v1 offset1:3
	v_pack_b32_f16 v0, v6, v3
	v_pack_b32_f16 v3, v9, v4
	ds_write_b32 v43, v2 offset:1536
	v_pack_b32_f16 v2, v15, v10
	v_pack_b32_f16 v1, v8, v7
	ds_write_b32 v43, v3 offset:7680
	ds_write2st64_b32 v43, v0, v2 offset0:12 offset1:15
	v_pack_b32_f16 v0, v11, v12
	ds_write2st64_b32 v43, v1, v0 offset0:21 offset1:24
	v_pack_b32_f16 v0, v5, v13
	ds_write_b32 v43, v0 offset:8448
	s_waitcnt lgkmcnt(0)
	s_barrier
	ds_read2st64_b32 v[0:1], v43 offset1:3
	v_mad_u64_u32 v[4:5], s[0:1], s10, v35, 0
	s_movk_i32 s10, 0x40f
	s_waitcnt lgkmcnt(0)
	v_lshrrev_b32_e32 v7, 16, v0
	v_mul_f16_sdwa v2, v53, v7 dst_sel:DWORD dst_unused:UNUSED_PAD src0_sel:WORD_1 src1_sel:DWORD
	v_fma_f16 v2, v53, v0, v2
	v_cvt_f32_f16_e32 v2, v2
	v_mad_u64_u32 v[5:6], s[0:1], s11, v35, v[5:6]
	v_mul_f16_sdwa v0, v53, v0 dst_sel:DWORD dst_unused:UNUSED_PAD src0_sel:WORD_1 src1_sel:DWORD
	v_cvt_f64_f32_e32 v[2:3], v2
	v_fma_f16 v0, v53, v7, -v0
	v_cvt_f32_f16_e32 v7, v0
	v_mov_b32_e32 v0, 0x7c00
	v_mul_f64 v[2:3], v[2:3], s[2:3]
	s_mov_b32 s11, 0x8000
	v_lshlrev_b64 v[4:5], 2, v[4:5]
	v_and_or_b32 v2, v3, s6, v2
	v_cmp_ne_u32_e32 vcc, 0, v2
	v_cndmask_b32_e64 v2, 0, 1, vcc
	v_lshrrev_b32_e32 v6, 8, v3
	v_bfe_u32 v8, v3, 20, 11
	v_and_or_b32 v2, v6, s7, v2
	v_sub_u32_e32 v9, 0x3f1, v8
	v_or_b32_e32 v6, 0x1000, v2
	v_med3_i32 v9, v9, 0, 13
	v_lshrrev_b32_e32 v10, v9, v6
	v_lshlrev_b32_e32 v9, v9, v10
	v_cmp_ne_u32_e32 vcc, v9, v6
	v_cndmask_b32_e64 v6, 0, 1, vcc
	v_add_u32_e32 v8, 0xfffffc10, v8
	v_or_b32_e32 v6, v10, v6
	v_lshl_or_b32 v9, v8, 12, v2
	v_cmp_gt_i32_e32 vcc, 1, v8
	v_cndmask_b32_e32 v6, v9, v6, vcc
	v_and_b32_e32 v9, 7, v6
	v_cmp_lt_i32_e32 vcc, 5, v9
	v_cmp_eq_u32_e64 s[0:1], 3, v9
	v_lshrrev_b32_e32 v6, 2, v6
	s_or_b64 vcc, s[0:1], vcc
	v_addc_co_u32_e32 v9, vcc, 0, v6, vcc
	v_cvt_f64_f32_e32 v[6:7], v7
	v_cmp_gt_i32_e32 vcc, 31, v8
	v_cndmask_b32_e32 v9, v0, v9, vcc
	v_cmp_ne_u32_e32 vcc, 0, v2
	v_mul_f64 v[6:7], v[6:7], s[2:3]
	v_cndmask_b32_e64 v2, 0, 1, vcc
	v_lshl_or_b32 v2, v2, 9, v0
	v_cmp_eq_u32_e32 vcc, s10, v8
	v_cndmask_b32_e32 v2, v9, v2, vcc
	v_lshrrev_b32_e32 v3, 16, v3
	v_and_or_b32 v10, v3, s11, v2
	v_and_b32_e32 v10, 0xffff, v10
	v_and_or_b32 v2, v7, s6, v6
	v_cmp_ne_u32_e32 vcc, 0, v2
	v_cndmask_b32_e64 v2, 0, 1, vcc
	v_lshrrev_b32_e32 v3, 8, v7
	v_bfe_u32 v6, v7, 20, 11
	v_and_or_b32 v2, v3, s7, v2
	v_sub_u32_e32 v8, 0x3f1, v6
	v_or_b32_e32 v3, 0x1000, v2
	v_med3_i32 v8, v8, 0, 13
	v_lshrrev_b32_e32 v9, v8, v3
	v_lshlrev_b32_e32 v8, v8, v9
	v_cmp_ne_u32_e32 vcc, v8, v3
	v_cndmask_b32_e64 v3, 0, 1, vcc
	v_add_u32_e32 v6, 0xfffffc10, v6
	v_or_b32_e32 v3, v9, v3
	v_lshl_or_b32 v8, v6, 12, v2
	v_cmp_gt_i32_e32 vcc, 1, v6
	v_cndmask_b32_e32 v3, v8, v3, vcc
	v_and_b32_e32 v8, 7, v3
	v_cmp_lt_i32_e32 vcc, 5, v8
	v_cmp_eq_u32_e64 s[0:1], 3, v8
	v_lshrrev_b32_e32 v3, 2, v3
	s_or_b64 vcc, s[0:1], vcc
	v_addc_co_u32_e32 v3, vcc, 0, v3, vcc
	v_cmp_gt_i32_e32 vcc, 31, v6
	v_cndmask_b32_e32 v3, v0, v3, vcc
	v_cmp_ne_u32_e32 vcc, 0, v2
	v_cndmask_b32_e64 v2, 0, 1, vcc
	v_lshl_or_b32 v2, v2, 9, v0
	v_cmp_eq_u32_e32 vcc, s10, v6
	v_mad_u64_u32 v[8:9], s[0:1], s8, v51, 0
	v_cndmask_b32_e32 v11, v3, v2, vcc
	ds_read2st64_b32 v[2:3], v43 offset0:6 offset1:9
	v_mov_b32_e32 v6, v9
	v_lshrrev_b32_e32 v12, 16, v7
	v_mad_u64_u32 v[6:7], s[0:1], s9, v51, v[6:7]
	s_waitcnt lgkmcnt(0)
	v_lshrrev_b32_e32 v13, 16, v2
	v_mul_f16_sdwa v7, v52, v13 dst_sel:DWORD dst_unused:UNUSED_PAD src0_sel:WORD_1 src1_sel:DWORD
	v_fma_f16 v7, v52, v2, v7
	v_cvt_f32_f16_e32 v7, v7
	v_mov_b32_e32 v9, v6
	v_and_or_b32 v11, v12, s11, v11
	v_lshl_or_b32 v10, v11, 16, v10
	v_cvt_f64_f32_e32 v[6:7], v7
	v_mov_b32_e32 v11, s5
	v_add_co_u32_e32 v19, vcc, s4, v4
	v_mul_f64 v[6:7], v[6:7], s[2:3]
	v_addc_co_u32_e32 v20, vcc, v11, v5, vcc
	v_lshlrev_b64 v[4:5], 2, v[8:9]
	v_mul_f16_sdwa v2, v52, v2 dst_sel:DWORD dst_unused:UNUSED_PAD src0_sel:WORD_1 src1_sel:DWORD
	v_add_co_u32_e32 v8, vcc, v19, v4
	v_addc_co_u32_e32 v9, vcc, v20, v5, vcc
	v_and_or_b32 v4, v7, s6, v6
	v_cmp_ne_u32_e32 vcc, 0, v4
	v_cndmask_b32_e64 v4, 0, 1, vcc
	v_lshrrev_b32_e32 v5, 8, v7
	global_store_dword v[8:9], v10, off
	v_and_or_b32 v10, v5, s7, v4
	v_bfe_u32 v5, v7, 20, 11
	v_sub_u32_e32 v6, 0x3f1, v5
	v_or_b32_e32 v4, 0x1000, v10
	v_med3_i32 v6, v6, 0, 13
	v_lshrrev_b32_e32 v11, v6, v4
	v_lshlrev_b32_e32 v6, v6, v11
	v_cmp_ne_u32_e32 vcc, v6, v4
	v_cndmask_b32_e64 v4, 0, 1, vcc
	v_fma_f16 v2, v52, v13, -v2
	v_or_b32_e32 v4, v11, v4
	v_add_u32_e32 v11, 0xfffffc10, v5
	v_cvt_f32_f16_e32 v2, v2
	v_lshl_or_b32 v5, v11, 12, v10
	v_cmp_gt_i32_e32 vcc, 1, v11
	v_cndmask_b32_e32 v4, v5, v4, vcc
	v_and_b32_e32 v5, 7, v4
	v_cmp_lt_i32_e32 vcc, 5, v5
	v_cmp_eq_u32_e64 s[0:1], 3, v5
	v_lshrrev_b32_e32 v6, 2, v4
	v_cvt_f64_f32_e32 v[4:5], v2
	s_or_b64 vcc, s[0:1], vcc
	v_addc_co_u32_e32 v2, vcc, 0, v6, vcc
	v_mul_f64 v[5:6], v[4:5], s[2:3]
	v_cmp_gt_i32_e32 vcc, 31, v11
	v_cndmask_b32_e32 v2, v0, v2, vcc
	v_cmp_ne_u32_e32 vcc, 0, v10
	v_cndmask_b32_e64 v4, 0, 1, vcc
	v_lshl_or_b32 v4, v4, 9, v0
	v_cmp_eq_u32_e32 vcc, s10, v11
	v_cndmask_b32_e32 v2, v2, v4, vcc
	v_lshrrev_b32_e32 v4, 16, v7
	v_and_or_b32 v2, v4, s11, v2
	v_and_or_b32 v4, v6, s6, v5
	v_cmp_ne_u32_e32 vcc, 0, v4
	v_cndmask_b32_e64 v4, 0, 1, vcc
	v_lshrrev_b32_e32 v5, 8, v6
	v_bfe_u32 v7, v6, 20, 11
	v_and_or_b32 v4, v5, s7, v4
	v_sub_u32_e32 v10, 0x3f1, v7
	v_or_b32_e32 v5, 0x1000, v4
	v_med3_i32 v10, v10, 0, 13
	v_lshrrev_b32_e32 v11, v10, v5
	v_lshlrev_b32_e32 v10, v10, v11
	v_cmp_ne_u32_e32 vcc, v10, v5
	v_cndmask_b32_e64 v5, 0, 1, vcc
	v_add_u32_e32 v7, 0xfffffc10, v7
	v_or_b32_e32 v5, v11, v5
	v_lshl_or_b32 v10, v7, 12, v4
	v_cmp_gt_i32_e32 vcc, 1, v7
	v_cndmask_b32_e32 v5, v10, v5, vcc
	v_and_b32_e32 v10, 7, v5
	v_cmp_lt_i32_e32 vcc, 5, v10
	v_cmp_eq_u32_e64 s[0:1], 3, v10
	v_lshrrev_b32_e32 v5, 2, v5
	s_or_b64 vcc, s[0:1], vcc
	v_addc_co_u32_e32 v5, vcc, 0, v5, vcc
	v_cmp_gt_i32_e32 vcc, 31, v7
	v_cndmask_b32_e32 v10, v0, v5, vcc
	v_cmp_ne_u32_e32 vcc, 0, v4
	ds_read2st64_b32 v[4:5], v43 offset0:12 offset1:15
	v_cndmask_b32_e64 v11, 0, 1, vcc
	v_lshl_or_b32 v11, v11, 9, v0
	v_cmp_eq_u32_e32 vcc, s10, v7
	v_cndmask_b32_e32 v7, v10, v11, vcc
	s_waitcnt lgkmcnt(0)
	v_lshrrev_b32_e32 v12, 16, v4
	v_mul_f16_sdwa v10, v50, v12 dst_sel:DWORD dst_unused:UNUSED_PAD src0_sel:WORD_1 src1_sel:DWORD
	v_fma_f16 v10, v50, v4, v10
	v_cvt_f32_f16_e32 v10, v10
	v_lshrrev_b32_e32 v6, 16, v6
	v_and_or_b32 v6, v6, s11, v7
	v_and_b32_e32 v2, 0xffff, v2
	v_lshl_or_b32 v2, v6, 16, v2
	v_cvt_f64_f32_e32 v[6:7], v10
	s_mul_i32 s0, s9, 0x600
	s_mul_hi_u32 s4, s8, 0x600
	s_add_i32 s4, s4, s0
	v_mul_f64 v[6:7], v[6:7], s[2:3]
	s_mul_i32 s5, s8, 0x600
	v_mov_b32_e32 v11, s4
	v_add_co_u32_e32 v10, vcc, s5, v8
	v_addc_co_u32_e32 v11, vcc, v9, v11, vcc
	global_store_dword v[10:11], v2, off
	v_and_or_b32 v2, v7, s6, v6
	v_cmp_ne_u32_e32 vcc, 0, v2
	v_cndmask_b32_e64 v2, 0, 1, vcc
	v_lshrrev_b32_e32 v6, 8, v7
	v_bfe_u32 v8, v7, 20, 11
	v_and_or_b32 v2, v6, s7, v2
	v_sub_u32_e32 v9, 0x3f1, v8
	v_or_b32_e32 v6, 0x1000, v2
	v_med3_i32 v9, v9, 0, 13
	v_lshrrev_b32_e32 v13, v9, v6
	v_lshlrev_b32_e32 v9, v9, v13
	v_cmp_ne_u32_e32 vcc, v9, v6
	v_mul_f16_sdwa v4, v50, v4 dst_sel:DWORD dst_unused:UNUSED_PAD src0_sel:WORD_1 src1_sel:DWORD
	v_cndmask_b32_e64 v6, 0, 1, vcc
	v_fma_f16 v4, v50, v12, -v4
	v_or_b32_e32 v6, v13, v6
	v_add_u32_e32 v13, 0xfffffc10, v8
	v_cvt_f32_f16_e32 v4, v4
	v_lshl_or_b32 v8, v13, 12, v2
	v_cmp_gt_i32_e32 vcc, 1, v13
	v_cndmask_b32_e32 v6, v8, v6, vcc
	v_and_b32_e32 v8, 7, v6
	v_cmp_lt_i32_e32 vcc, 5, v8
	v_cmp_eq_u32_e64 s[0:1], 3, v8
	v_cvt_f64_f32_e32 v[8:9], v4
	v_lshrrev_b32_e32 v6, 2, v6
	s_or_b64 vcc, s[0:1], vcc
	v_addc_co_u32_e32 v4, vcc, 0, v6, vcc
	v_mul_f64 v[8:9], v[8:9], s[2:3]
	v_cmp_gt_i32_e32 vcc, 31, v13
	v_cndmask_b32_e32 v4, v0, v4, vcc
	v_cmp_ne_u32_e32 vcc, 0, v2
	v_cndmask_b32_e64 v2, 0, 1, vcc
	v_lshl_or_b32 v2, v2, 9, v0
	v_cmp_eq_u32_e32 vcc, s10, v13
	v_cndmask_b32_e32 v2, v4, v2, vcc
	v_lshrrev_b32_e32 v4, 16, v7
	v_and_or_b32 v4, v4, s11, v2
	v_and_or_b32 v2, v9, s6, v8
	v_cmp_ne_u32_e32 vcc, 0, v2
	v_cndmask_b32_e64 v2, 0, 1, vcc
	v_lshrrev_b32_e32 v6, 8, v9
	v_bfe_u32 v7, v9, 20, 11
	v_and_or_b32 v2, v6, s7, v2
	v_sub_u32_e32 v8, 0x3f1, v7
	v_or_b32_e32 v6, 0x1000, v2
	v_med3_i32 v8, v8, 0, 13
	v_lshrrev_b32_e32 v12, v8, v6
	v_lshlrev_b32_e32 v8, v8, v12
	v_cmp_ne_u32_e32 vcc, v8, v6
	v_cndmask_b32_e64 v6, 0, 1, vcc
	v_add_u32_e32 v8, 0xfffffc10, v7
	v_or_b32_e32 v6, v12, v6
	v_lshl_or_b32 v7, v8, 12, v2
	v_cmp_gt_i32_e32 vcc, 1, v8
	v_cndmask_b32_e32 v6, v7, v6, vcc
	v_and_b32_e32 v7, 7, v6
	v_cmp_lt_i32_e32 vcc, 5, v7
	v_cmp_eq_u32_e64 s[0:1], 3, v7
	v_lshrrev_b32_e32 v6, 2, v6
	s_or_b64 vcc, s[0:1], vcc
	v_addc_co_u32_e32 v6, vcc, 0, v6, vcc
	v_cmp_gt_i32_e32 vcc, 31, v8
	v_cndmask_b32_e32 v14, v0, v6, vcc
	ds_read2st64_b32 v[6:7], v43 offset0:18 offset1:21
	v_cmp_ne_u32_e32 vcc, 0, v2
	v_cndmask_b32_e64 v2, 0, 1, vcc
	v_cmp_eq_u32_e32 vcc, s10, v8
	v_mad_u64_u32 v[12:13], s[0:1], s8, v48, 0
	s_waitcnt lgkmcnt(0)
	v_lshrrev_b32_e32 v16, 16, v6
	v_mul_f16_sdwa v8, v49, v16 dst_sel:DWORD dst_unused:UNUSED_PAD src0_sel:WORD_1 src1_sel:DWORD
	v_fma_f16 v8, v49, v6, v8
	v_cvt_f32_f16_e32 v8, v8
	v_lshl_or_b32 v2, v2, 9, v0
	v_cndmask_b32_e32 v15, v14, v2, vcc
	v_mov_b32_e32 v2, v13
	v_mad_u64_u32 v[13:14], s[0:1], s9, v48, v[2:3]
	v_lshrrev_b32_e32 v2, 16, v9
	v_cvt_f64_f32_e32 v[8:9], v8
	v_lshlrev_b64 v[12:13], 2, v[12:13]
	v_and_or_b32 v2, v2, s11, v15
	v_and_b32_e32 v4, 0xffff, v4
	v_mul_f64 v[8:9], v[8:9], s[2:3]
	v_add_co_u32_e32 v12, vcc, v19, v12
	v_lshl_or_b32 v2, v2, 16, v4
	v_addc_co_u32_e32 v13, vcc, v20, v13, vcc
	global_store_dword v[12:13], v2, off
	v_mul_f16_sdwa v6, v49, v6 dst_sel:DWORD dst_unused:UNUSED_PAD src0_sel:WORD_1 src1_sel:DWORD
	v_and_or_b32 v2, v9, s6, v8
	v_cmp_ne_u32_e32 vcc, 0, v2
	v_cndmask_b32_e64 v2, 0, 1, vcc
	v_lshrrev_b32_e32 v4, 8, v9
	v_bfe_u32 v8, v9, 20, 11
	v_and_or_b32 v2, v4, s7, v2
	v_sub_u32_e32 v12, 0x3f1, v8
	v_or_b32_e32 v4, 0x1000, v2
	v_med3_i32 v12, v12, 0, 13
	v_lshrrev_b32_e32 v13, v12, v4
	v_lshlrev_b32_e32 v12, v12, v13
	v_cmp_ne_u32_e32 vcc, v12, v4
	v_fma_f16 v6, v49, v16, -v6
	v_cndmask_b32_e64 v4, 0, 1, vcc
	v_add_u32_e32 v8, 0xfffffc10, v8
	v_cvt_f32_f16_e32 v6, v6
	v_or_b32_e32 v4, v13, v4
	v_lshl_or_b32 v12, v8, 12, v2
	v_cmp_gt_i32_e32 vcc, 1, v8
	v_cndmask_b32_e32 v4, v12, v4, vcc
	v_and_b32_e32 v12, 7, v4
	v_cmp_lt_i32_e32 vcc, 5, v12
	v_cmp_eq_u32_e64 s[0:1], 3, v12
	v_cvt_f64_f32_e32 v[12:13], v6
	v_lshrrev_b32_e32 v4, 2, v4
	s_or_b64 vcc, s[0:1], vcc
	v_addc_co_u32_e32 v4, vcc, 0, v4, vcc
	v_mul_f64 v[12:13], v[12:13], s[2:3]
	v_cmp_gt_i32_e32 vcc, 31, v8
	v_cndmask_b32_e32 v4, v0, v4, vcc
	v_cmp_ne_u32_e32 vcc, 0, v2
	v_cndmask_b32_e64 v2, 0, 1, vcc
	v_lshl_or_b32 v2, v2, 9, v0
	v_cmp_eq_u32_e32 vcc, s10, v8
	v_cndmask_b32_e32 v2, v4, v2, vcc
	v_lshrrev_b32_e32 v4, 16, v9
	v_and_or_b32 v2, v4, s11, v2
	v_and_or_b32 v4, v13, s6, v12
	v_cmp_ne_u32_e32 vcc, 0, v4
	v_cndmask_b32_e64 v4, 0, 1, vcc
	v_lshrrev_b32_e32 v6, 8, v13
	v_bfe_u32 v8, v13, 20, 11
	v_and_or_b32 v4, v6, s7, v4
	v_sub_u32_e32 v9, 0x3f1, v8
	v_or_b32_e32 v6, 0x1000, v4
	v_med3_i32 v9, v9, 0, 13
	v_lshrrev_b32_e32 v12, v9, v6
	v_lshlrev_b32_e32 v9, v9, v12
	v_cmp_ne_u32_e32 vcc, v9, v6
	v_cndmask_b32_e64 v6, 0, 1, vcc
	v_or_b32_e32 v6, v12, v6
	v_add_u32_e32 v12, 0xfffffc10, v8
	v_lshl_or_b32 v8, v12, 12, v4
	v_cmp_gt_i32_e32 vcc, 1, v12
	v_cndmask_b32_e32 v6, v8, v6, vcc
	v_and_b32_e32 v8, 7, v6
	v_cmp_lt_i32_e32 vcc, 5, v8
	v_cmp_eq_u32_e64 s[0:1], 3, v8
	ds_read2st64_b32 v[8:9], v43 offset0:24 offset1:27
	v_lshrrev_b32_e32 v6, 2, v6
	s_or_b64 vcc, s[0:1], vcc
	v_addc_co_u32_e32 v6, vcc, 0, v6, vcc
	s_waitcnt lgkmcnt(0)
	v_lshrrev_b32_e32 v16, 16, v8
	v_mul_f16_sdwa v14, v47, v16 dst_sel:DWORD dst_unused:UNUSED_PAD src0_sel:WORD_1 src1_sel:DWORD
	v_fma_f16 v14, v47, v8, v14
	v_cvt_f32_f16_e32 v14, v14
	v_cmp_gt_i32_e32 vcc, 31, v12
	v_cndmask_b32_e32 v6, v0, v6, vcc
	v_cmp_ne_u32_e32 vcc, 0, v4
	v_cvt_f64_f32_e32 v[14:15], v14
	v_cndmask_b32_e64 v4, 0, 1, vcc
	v_lshl_or_b32 v4, v4, 9, v0
	v_cmp_eq_u32_e32 vcc, s10, v12
	v_cndmask_b32_e32 v4, v6, v4, vcc
	v_lshrrev_b32_e32 v6, 16, v13
	v_mul_f64 v[12:13], v[14:15], s[2:3]
	v_mad_u64_u32 v[14:15], s[0:1], s8, v41, v[10:11]
	v_and_or_b32 v4, v6, s11, v4
	v_and_b32_e32 v2, 0xffff, v2
	v_lshl_or_b32 v2, v4, 16, v2
	v_add_u32_e32 v15, s12, v15
	global_store_dword v[14:15], v2, off
	v_and_or_b32 v2, v13, s6, v12
	v_cmp_ne_u32_e32 vcc, 0, v2
	v_cndmask_b32_e64 v2, 0, 1, vcc
	v_lshrrev_b32_e32 v4, 8, v13
	v_bfe_u32 v6, v13, 20, 11
	v_and_or_b32 v2, v4, s7, v2
	v_sub_u32_e32 v10, 0x3f1, v6
	v_or_b32_e32 v4, 0x1000, v2
	v_med3_i32 v10, v10, 0, 13
	v_lshrrev_b32_e32 v11, v10, v4
	v_lshlrev_b32_e32 v10, v10, v11
	v_mul_f16_sdwa v8, v47, v8 dst_sel:DWORD dst_unused:UNUSED_PAD src0_sel:WORD_1 src1_sel:DWORD
	v_cmp_ne_u32_e32 vcc, v10, v4
	v_fma_f16 v8, v47, v16, -v8
	v_cndmask_b32_e64 v4, 0, 1, vcc
	v_add_u32_e32 v6, 0xfffffc10, v6
	v_cvt_f32_f16_e32 v8, v8
	v_or_b32_e32 v4, v11, v4
	v_lshl_or_b32 v10, v6, 12, v2
	v_cmp_gt_i32_e32 vcc, 1, v6
	v_cndmask_b32_e32 v4, v10, v4, vcc
	v_and_b32_e32 v10, 7, v4
	v_cmp_lt_i32_e32 vcc, 5, v10
	v_cmp_eq_u32_e64 s[0:1], 3, v10
	v_cvt_f64_f32_e32 v[10:11], v8
	v_lshrrev_b32_e32 v4, 2, v4
	s_or_b64 vcc, s[0:1], vcc
	v_addc_co_u32_e32 v4, vcc, 0, v4, vcc
	v_mul_f64 v[11:12], v[10:11], s[2:3]
	v_cmp_gt_i32_e32 vcc, 31, v6
	v_cndmask_b32_e32 v4, v0, v4, vcc
	v_cmp_ne_u32_e32 vcc, 0, v2
	v_cndmask_b32_e64 v2, 0, 1, vcc
	v_lshl_or_b32 v2, v2, 9, v0
	v_cmp_eq_u32_e32 vcc, s10, v6
	v_cndmask_b32_e32 v2, v4, v2, vcc
	v_lshrrev_b32_e32 v4, 16, v13
	v_and_or_b32 v4, v4, s11, v2
	v_and_or_b32 v2, v12, s6, v11
	v_cmp_ne_u32_e32 vcc, 0, v2
	v_cndmask_b32_e64 v2, 0, 1, vcc
	v_lshrrev_b32_e32 v6, 8, v12
	v_bfe_u32 v8, v12, 20, 11
	v_and_or_b32 v2, v6, s7, v2
	v_sub_u32_e32 v10, 0x3f1, v8
	v_or_b32_e32 v6, 0x1000, v2
	v_med3_i32 v10, v10, 0, 13
	v_lshrrev_b32_e32 v11, v10, v6
	v_lshlrev_b32_e32 v10, v10, v11
	v_cmp_ne_u32_e32 vcc, v10, v6
	v_cndmask_b32_e64 v6, 0, 1, vcc
	v_add_u32_e32 v8, 0xfffffc10, v8
	v_or_b32_e32 v6, v11, v6
	v_lshl_or_b32 v10, v8, 12, v2
	v_cmp_gt_i32_e32 vcc, 1, v8
	v_cndmask_b32_e32 v6, v10, v6, vcc
	v_and_b32_e32 v10, 7, v6
	v_cmp_lt_i32_e32 vcc, 5, v10
	v_cmp_eq_u32_e64 s[0:1], 3, v10
	ds_read2st64_b32 v[10:11], v43 offset0:30 offset1:33
	v_lshrrev_b32_e32 v6, 2, v6
	s_or_b64 vcc, s[0:1], vcc
	v_addc_co_u32_e32 v6, vcc, 0, v6, vcc
	v_cmp_gt_i32_e32 vcc, 31, v8
	v_cndmask_b32_e32 v6, v0, v6, vcc
	v_cmp_ne_u32_e32 vcc, 0, v2
	v_cndmask_b32_e64 v2, 0, 1, vcc
	v_cmp_eq_u32_e32 vcc, s10, v8
	s_waitcnt lgkmcnt(0)
	v_lshrrev_b32_e32 v8, 16, v10
	v_mul_f16_sdwa v13, v46, v8 dst_sel:DWORD dst_unused:UNUSED_PAD src0_sel:WORD_1 src1_sel:DWORD
	v_mad_u64_u32 v[16:17], s[0:1], s8, v45, 0
	v_fma_f16 v13, v46, v10, v13
	v_cvt_f32_f16_e32 v13, v13
	v_lshl_or_b32 v2, v2, 9, v0
	v_cndmask_b32_e32 v6, v6, v2, vcc
	v_mov_b32_e32 v2, v17
	v_mad_u64_u32 v[17:18], s[0:1], s9, v45, v[2:3]
	v_lshrrev_b32_e32 v2, 16, v12
	v_cvt_f64_f32_e32 v[12:13], v13
	v_lshlrev_b64 v[16:17], 2, v[16:17]
	v_and_or_b32 v2, v2, s11, v6
	v_and_b32_e32 v4, 0xffff, v4
	v_mul_f64 v[12:13], v[12:13], s[2:3]
	v_add_co_u32_e32 v16, vcc, v19, v16
	v_lshl_or_b32 v2, v2, 16, v4
	v_addc_co_u32_e32 v17, vcc, v20, v17, vcc
	global_store_dword v[16:17], v2, off
	v_mul_f16_sdwa v10, v46, v10 dst_sel:DWORD dst_unused:UNUSED_PAD src0_sel:WORD_1 src1_sel:DWORD
	v_and_or_b32 v2, v13, s6, v12
	v_cmp_ne_u32_e32 vcc, 0, v2
	v_cndmask_b32_e64 v2, 0, 1, vcc
	v_lshrrev_b32_e32 v4, 8, v13
	v_bfe_u32 v6, v13, 20, 11
	v_and_or_b32 v2, v4, s7, v2
	v_sub_u32_e32 v12, 0x3f1, v6
	v_or_b32_e32 v4, 0x1000, v2
	v_med3_i32 v12, v12, 0, 13
	v_fma_f16 v8, v46, v8, -v10
	v_lshrrev_b32_e32 v16, v12, v4
	v_cvt_f32_f16_e32 v8, v8
	v_lshlrev_b32_e32 v12, v12, v16
	v_cmp_ne_u32_e32 vcc, v12, v4
	v_cndmask_b32_e64 v4, 0, 1, vcc
	v_or_b32_e32 v4, v16, v4
	v_add_u32_e32 v6, 0xfffffc10, v6
	v_cvt_f64_f32_e32 v[16:17], v8
	v_lshl_or_b32 v12, v6, 12, v2
	v_cmp_gt_i32_e32 vcc, 1, v6
	v_cndmask_b32_e32 v4, v12, v4, vcc
	v_and_b32_e32 v12, 7, v4
	v_cmp_lt_i32_e32 vcc, 5, v12
	v_cmp_eq_u32_e64 s[0:1], 3, v12
	v_mul_f64 v[16:17], v[16:17], s[2:3]
	v_lshrrev_b32_e32 v4, 2, v4
	s_or_b64 vcc, s[0:1], vcc
	v_addc_co_u32_e32 v4, vcc, 0, v4, vcc
	v_cmp_gt_i32_e32 vcc, 31, v6
	v_cndmask_b32_e32 v4, v0, v4, vcc
	v_cmp_ne_u32_e32 vcc, 0, v2
	v_cndmask_b32_e64 v2, 0, 1, vcc
	v_lshl_or_b32 v2, v2, 9, v0
	v_cmp_eq_u32_e32 vcc, s10, v6
	v_cndmask_b32_e32 v2, v4, v2, vcc
	v_lshrrev_b32_e32 v4, 16, v13
	v_and_or_b32 v2, v4, s11, v2
	v_and_or_b32 v4, v17, s6, v16
	v_cmp_ne_u32_e32 vcc, 0, v4
	v_cndmask_b32_e64 v4, 0, 1, vcc
	v_lshrrev_b32_e32 v6, 8, v17
	v_bfe_u32 v8, v17, 20, 11
	v_and_or_b32 v4, v6, s7, v4
	v_sub_u32_e32 v10, 0x3f1, v8
	v_or_b32_e32 v6, 0x1000, v4
	v_med3_i32 v10, v10, 0, 13
	v_lshrrev_b32_e32 v12, v10, v6
	v_lshlrev_b32_e32 v10, v10, v12
	v_cmp_ne_u32_e32 vcc, v10, v6
	v_cndmask_b32_e64 v6, 0, 1, vcc
	v_add_u32_e32 v8, 0xfffffc10, v8
	v_or_b32_e32 v6, v12, v6
	v_lshl_or_b32 v10, v8, 12, v4
	v_cmp_gt_i32_e32 vcc, 1, v8
	v_cndmask_b32_e32 v6, v10, v6, vcc
	v_and_b32_e32 v10, 7, v6
	v_cmp_lt_i32_e32 vcc, 5, v10
	v_cmp_eq_u32_e64 s[0:1], 3, v10
	v_lshrrev_b32_e32 v10, 16, v1
	v_mul_f16_sdwa v12, v44, v10 dst_sel:DWORD dst_unused:UNUSED_PAD src0_sel:WORD_1 src1_sel:DWORD
	v_fma_f16 v12, v44, v1, v12
	v_cvt_f32_f16_e32 v12, v12
	v_lshrrev_b32_e32 v6, 2, v6
	s_or_b64 vcc, s[0:1], vcc
	v_addc_co_u32_e32 v6, vcc, 0, v6, vcc
	v_cvt_f64_f32_e32 v[12:13], v12
	v_cmp_gt_i32_e32 vcc, 31, v8
	v_cndmask_b32_e32 v6, v0, v6, vcc
	v_cmp_ne_u32_e32 vcc, 0, v4
	v_mul_f64 v[12:13], v[12:13], s[2:3]
	v_cndmask_b32_e64 v4, 0, 1, vcc
	v_mad_u64_u32 v[14:15], s[0:1], s8, v41, v[14:15]
	v_lshl_or_b32 v4, v4, 9, v0
	v_cmp_eq_u32_e32 vcc, s10, v8
	v_cndmask_b32_e32 v4, v6, v4, vcc
	v_lshrrev_b32_e32 v6, 16, v17
	v_and_or_b32 v4, v6, s11, v4
	v_and_b32_e32 v2, 0xffff, v2
	v_lshl_or_b32 v2, v4, 16, v2
	v_add_u32_e32 v15, s12, v15
	global_store_dword v[14:15], v2, off
	v_and_or_b32 v2, v13, s6, v12
	v_cmp_ne_u32_e32 vcc, 0, v2
	v_cndmask_b32_e64 v2, 0, 1, vcc
	v_lshrrev_b32_e32 v4, 8, v13
	v_bfe_u32 v6, v13, 20, 11
	v_and_or_b32 v4, v4, s7, v2
	v_sub_u32_e32 v8, 0x3f1, v6
	v_or_b32_e32 v2, 0x1000, v4
	v_med3_i32 v8, v8, 0, 13
	v_lshrrev_b32_e32 v12, v8, v2
	v_lshlrev_b32_e32 v8, v8, v12
	v_mul_f16_sdwa v1, v44, v1 dst_sel:DWORD dst_unused:UNUSED_PAD src0_sel:WORD_1 src1_sel:DWORD
	v_cmp_ne_u32_e32 vcc, v8, v2
	v_fma_f16 v1, v44, v10, -v1
	v_cndmask_b32_e64 v2, 0, 1, vcc
	v_add_u32_e32 v6, 0xfffffc10, v6
	v_cvt_f32_f16_e32 v1, v1
	v_or_b32_e32 v2, v12, v2
	v_lshl_or_b32 v8, v6, 12, v4
	v_cmp_gt_i32_e32 vcc, 1, v6
	v_cndmask_b32_e32 v2, v8, v2, vcc
	v_and_b32_e32 v8, 7, v2
	v_cmp_lt_i32_e32 vcc, 5, v8
	v_cmp_eq_u32_e64 s[0:1], 3, v8
	v_lshrrev_b32_e32 v8, 2, v2
	v_cvt_f64_f32_e32 v[1:2], v1
	s_or_b64 vcc, s[0:1], vcc
	v_addc_co_u32_e32 v8, vcc, 0, v8, vcc
	v_mul_f64 v[1:2], v[1:2], s[2:3]
	v_cmp_gt_i32_e32 vcc, 31, v6
	v_cndmask_b32_e32 v8, v0, v8, vcc
	v_cmp_ne_u32_e32 vcc, 0, v4
	v_cndmask_b32_e64 v4, 0, 1, vcc
	v_lshl_or_b32 v4, v4, 9, v0
	v_cmp_eq_u32_e32 vcc, s10, v6
	v_cndmask_b32_e32 v4, v8, v4, vcc
	v_and_or_b32 v1, v2, s6, v1
	v_lshrrev_b32_e32 v6, 16, v13
	v_cmp_ne_u32_e32 vcc, 0, v1
	v_and_or_b32 v4, v6, s11, v4
	v_cndmask_b32_e64 v1, 0, 1, vcc
	v_lshrrev_b32_e32 v6, 8, v2
	v_bfe_u32 v8, v2, 20, 11
	v_and_or_b32 v1, v6, s7, v1
	v_sub_u32_e32 v10, 0x3f1, v8
	v_or_b32_e32 v6, 0x1000, v1
	v_med3_i32 v10, v10, 0, 13
	v_lshrrev_b32_e32 v12, v10, v6
	v_lshlrev_b32_e32 v10, v10, v12
	v_cmp_ne_u32_e32 vcc, v10, v6
	v_cndmask_b32_e64 v6, 0, 1, vcc
	v_add_u32_e32 v8, 0xfffffc10, v8
	v_or_b32_e32 v6, v12, v6
	v_lshl_or_b32 v10, v8, 12, v1
	v_cmp_gt_i32_e32 vcc, 1, v8
	v_cndmask_b32_e32 v6, v10, v6, vcc
	v_and_b32_e32 v10, 7, v6
	v_cmp_lt_i32_e32 vcc, 5, v10
	v_cmp_eq_u32_e64 s[0:1], 3, v10
	v_lshrrev_b32_e32 v10, 16, v3
	v_mul_f16_sdwa v12, v42, v10 dst_sel:DWORD dst_unused:UNUSED_PAD src0_sel:WORD_1 src1_sel:DWORD
	v_fma_f16 v12, v42, v3, v12
	v_cvt_f32_f16_e32 v12, v12
	v_lshrrev_b32_e32 v6, 2, v6
	s_or_b64 vcc, s[0:1], vcc
	v_addc_co_u32_e32 v6, vcc, 0, v6, vcc
	v_cmp_gt_i32_e32 vcc, 31, v8
	v_cndmask_b32_e32 v6, v0, v6, vcc
	v_cmp_ne_u32_e32 vcc, 0, v1
	v_cvt_f64_f32_e32 v[12:13], v12
	v_cndmask_b32_e64 v1, 0, 1, vcc
	v_lshl_or_b32 v1, v1, 9, v0
	v_cmp_eq_u32_e32 vcc, s10, v8
	v_cndmask_b32_e32 v1, v6, v1, vcc
	v_lshrrev_b32_e32 v2, 16, v2
	v_and_or_b32 v6, v2, s11, v1
	v_mul_f64 v[1:2], v[12:13], s[2:3]
	v_mad_u64_u32 v[12:13], s[0:1], s8, v40, v[14:15]
	s_mul_i32 s0, s9, 0xffffe500
	v_and_b32_e32 v4, 0xffff, v4
	s_sub_i32 s0, s0, s8
	v_lshl_or_b32 v4, v6, 16, v4
	v_add_u32_e32 v13, s0, v13
	v_and_or_b32 v1, v2, s6, v1
	v_cmp_ne_u32_e32 vcc, 0, v1
	global_store_dword v[12:13], v4, off
	v_cndmask_b32_e64 v1, 0, 1, vcc
	v_lshrrev_b32_e32 v4, 8, v2
	v_bfe_u32 v6, v2, 20, 11
	v_and_or_b32 v1, v4, s7, v1
	v_sub_u32_e32 v8, 0x3f1, v6
	v_or_b32_e32 v4, 0x1000, v1
	v_med3_i32 v8, v8, 0, 13
	v_lshrrev_b32_e32 v14, v8, v4
	v_lshlrev_b32_e32 v8, v8, v14
	v_mul_f16_sdwa v3, v42, v3 dst_sel:DWORD dst_unused:UNUSED_PAD src0_sel:WORD_1 src1_sel:DWORD
	v_cmp_ne_u32_e32 vcc, v8, v4
	v_fma_f16 v3, v42, v10, -v3
	v_cndmask_b32_e64 v4, 0, 1, vcc
	v_add_u32_e32 v6, 0xfffffc10, v6
	v_cvt_f32_f16_e32 v3, v3
	v_or_b32_e32 v4, v14, v4
	v_lshl_or_b32 v8, v6, 12, v1
	v_cmp_gt_i32_e32 vcc, 1, v6
	v_cndmask_b32_e32 v4, v8, v4, vcc
	v_and_b32_e32 v8, 7, v4
	v_cmp_lt_i32_e32 vcc, 5, v8
	v_cmp_eq_u32_e64 s[0:1], 3, v8
	v_lshrrev_b32_e32 v8, 2, v4
	v_cvt_f64_f32_e32 v[3:4], v3
	s_or_b64 vcc, s[0:1], vcc
	v_addc_co_u32_e32 v8, vcc, 0, v8, vcc
	v_mul_f64 v[3:4], v[3:4], s[2:3]
	v_cmp_gt_i32_e32 vcc, 31, v6
	v_cndmask_b32_e32 v8, v0, v8, vcc
	v_cmp_ne_u32_e32 vcc, 0, v1
	v_cndmask_b32_e64 v1, 0, 1, vcc
	v_lshl_or_b32 v1, v1, 9, v0
	v_cmp_eq_u32_e32 vcc, s10, v6
	v_cndmask_b32_e32 v1, v8, v1, vcc
	v_lshrrev_b32_e32 v2, 16, v2
	v_and_or_b32 v6, v2, s11, v1
	v_and_or_b32 v1, v4, s6, v3
	v_cmp_ne_u32_e32 vcc, 0, v1
	v_cndmask_b32_e64 v1, 0, 1, vcc
	v_lshrrev_b32_e32 v2, 8, v4
	v_bfe_u32 v3, v4, 20, 11
	v_and_or_b32 v1, v2, s7, v1
	v_sub_u32_e32 v8, 0x3f1, v3
	v_or_b32_e32 v2, 0x1000, v1
	v_med3_i32 v8, v8, 0, 13
	v_lshrrev_b32_e32 v10, v8, v2
	v_lshlrev_b32_e32 v8, v8, v10
	v_cmp_ne_u32_e32 vcc, v8, v2
	v_cndmask_b32_e64 v2, 0, 1, vcc
	v_add_u32_e32 v3, 0xfffffc10, v3
	v_or_b32_e32 v2, v10, v2
	v_lshl_or_b32 v8, v3, 12, v1
	v_cmp_gt_i32_e32 vcc, 1, v3
	v_cndmask_b32_e32 v2, v8, v2, vcc
	v_and_b32_e32 v8, 7, v2
	v_cmp_lt_i32_e32 vcc, 5, v8
	v_cmp_eq_u32_e64 s[0:1], 3, v8
	v_lshrrev_b32_e32 v8, 16, v5
	v_lshrrev_b32_e32 v2, 2, v2
	s_or_b64 vcc, s[0:1], vcc
	v_mul_f16_sdwa v10, v39, v8 dst_sel:DWORD dst_unused:UNUSED_PAD src0_sel:WORD_1 src1_sel:DWORD
	v_addc_co_u32_e32 v2, vcc, 0, v2, vcc
	v_fma_f16 v10, v39, v5, v10
	v_cmp_gt_i32_e32 vcc, 31, v3
	v_cvt_f32_f16_e32 v10, v10
	v_cndmask_b32_e32 v2, v0, v2, vcc
	v_cmp_ne_u32_e32 vcc, 0, v1
	v_cndmask_b32_e64 v1, 0, 1, vcc
	v_lshl_or_b32 v1, v1, 9, v0
	v_cmp_eq_u32_e32 vcc, s10, v3
	v_cndmask_b32_e32 v3, v2, v1, vcc
	v_cvt_f64_f32_e32 v[1:2], v10
	v_lshrrev_b32_e32 v4, 16, v4
	v_and_or_b32 v3, v4, s11, v3
	v_and_b32_e32 v4, 0xffff, v6
	v_mul_f64 v[1:2], v[1:2], s[2:3]
	v_lshl_or_b32 v6, v3, 16, v4
	v_mov_b32_e32 v4, s4
	v_add_co_u32_e32 v3, vcc, s5, v12
	v_addc_co_u32_e32 v4, vcc, v13, v4, vcc
	global_store_dword v[3:4], v6, off
	v_and_or_b32 v1, v2, s6, v1
	v_cmp_ne_u32_e32 vcc, 0, v1
	v_cndmask_b32_e64 v1, 0, 1, vcc
	v_lshrrev_b32_e32 v6, 8, v2
	v_bfe_u32 v10, v2, 20, 11
	v_and_or_b32 v1, v6, s7, v1
	v_sub_u32_e32 v12, 0x3f1, v10
	v_or_b32_e32 v6, 0x1000, v1
	v_med3_i32 v12, v12, 0, 13
	v_lshrrev_b32_e32 v13, v12, v6
	v_mul_f16_sdwa v5, v39, v5 dst_sel:DWORD dst_unused:UNUSED_PAD src0_sel:WORD_1 src1_sel:DWORD
	v_lshlrev_b32_e32 v12, v12, v13
	v_fma_f16 v5, v39, v8, -v5
	v_cmp_ne_u32_e32 vcc, v12, v6
	v_cvt_f32_f16_e32 v5, v5
	v_cndmask_b32_e64 v6, 0, 1, vcc
	v_add_u32_e32 v10, 0xfffffc10, v10
	v_or_b32_e32 v6, v13, v6
	v_lshl_or_b32 v12, v10, 12, v1
	v_cmp_gt_i32_e32 vcc, 1, v10
	v_cndmask_b32_e32 v6, v12, v6, vcc
	v_and_b32_e32 v12, 7, v6
	v_lshrrev_b32_e32 v8, 2, v6
	v_cvt_f64_f32_e32 v[5:6], v5
	v_cmp_lt_i32_e32 vcc, 5, v12
	v_cmp_eq_u32_e64 s[0:1], 3, v12
	s_or_b64 vcc, s[0:1], vcc
	v_mul_f64 v[5:6], v[5:6], s[2:3]
	v_addc_co_u32_e32 v8, vcc, 0, v8, vcc
	v_cmp_gt_i32_e32 vcc, 31, v10
	v_cndmask_b32_e32 v8, v0, v8, vcc
	v_cmp_ne_u32_e32 vcc, 0, v1
	v_cndmask_b32_e64 v1, 0, 1, vcc
	v_lshl_or_b32 v1, v1, 9, v0
	v_cmp_eq_u32_e32 vcc, s10, v10
	v_cndmask_b32_e32 v1, v8, v1, vcc
	v_lshrrev_b32_e32 v2, 16, v2
	v_and_or_b32 v8, v2, s11, v1
	v_and_or_b32 v1, v6, s6, v5
	v_cmp_ne_u32_e32 vcc, 0, v1
	v_cndmask_b32_e64 v1, 0, 1, vcc
	v_lshrrev_b32_e32 v2, 8, v6
	v_bfe_u32 v5, v6, 20, 11
	v_and_or_b32 v1, v2, s7, v1
	v_sub_u32_e32 v10, 0x3f1, v5
	v_or_b32_e32 v2, 0x1000, v1
	v_med3_i32 v10, v10, 0, 13
	v_lshrrev_b32_e32 v12, v10, v2
	v_lshlrev_b32_e32 v10, v10, v12
	v_cmp_ne_u32_e32 vcc, v10, v2
	v_cndmask_b32_e64 v2, 0, 1, vcc
	v_add_u32_e32 v5, 0xfffffc10, v5
	v_or_b32_e32 v2, v12, v2
	v_lshl_or_b32 v10, v5, 12, v1
	v_cmp_gt_i32_e32 vcc, 1, v5
	v_cndmask_b32_e32 v2, v10, v2, vcc
	v_and_b32_e32 v10, 7, v2
	v_cmp_lt_i32_e32 vcc, 5, v10
	v_cmp_eq_u32_e64 s[0:1], 3, v10
	v_lshrrev_b32_e32 v10, 16, v7
	v_lshrrev_b32_e32 v2, 2, v2
	s_or_b64 vcc, s[0:1], vcc
	v_mul_f16_sdwa v12, v38, v10 dst_sel:DWORD dst_unused:UNUSED_PAD src0_sel:WORD_1 src1_sel:DWORD
	v_addc_co_u32_e32 v2, vcc, 0, v2, vcc
	v_fma_f16 v12, v38, v7, v12
	v_cmp_gt_i32_e32 vcc, 31, v5
	v_cvt_f32_f16_e32 v12, v12
	v_cndmask_b32_e32 v2, v0, v2, vcc
	v_cmp_ne_u32_e32 vcc, 0, v1
	v_cndmask_b32_e64 v1, 0, 1, vcc
	v_lshl_or_b32 v1, v1, 9, v0
	v_cmp_eq_u32_e32 vcc, s10, v5
	v_cndmask_b32_e32 v5, v2, v1, vcc
	v_cvt_f64_f32_e32 v[1:2], v12
	v_lshrrev_b32_e32 v6, 16, v6
	v_and_or_b32 v5, v6, s11, v5
	v_and_b32_e32 v6, 0xffff, v8
	v_mul_f64 v[1:2], v[1:2], s[2:3]
	v_lshl_or_b32 v5, v5, 16, v6
	v_mov_b32_e32 v6, s4
	v_add_co_u32_e32 v3, vcc, s5, v3
	v_addc_co_u32_e32 v4, vcc, v4, v6, vcc
	global_store_dword v[3:4], v5, off
	v_and_or_b32 v1, v2, s6, v1
	v_cmp_ne_u32_e32 vcc, 0, v1
	v_cndmask_b32_e64 v1, 0, 1, vcc
	v_lshrrev_b32_e32 v5, 8, v2
	v_bfe_u32 v6, v2, 20, 11
	v_and_or_b32 v1, v5, s7, v1
	v_sub_u32_e32 v8, 0x3f1, v6
	v_or_b32_e32 v5, 0x1000, v1
	v_med3_i32 v8, v8, 0, 13
	v_lshrrev_b32_e32 v12, v8, v5
	v_lshlrev_b32_e32 v8, v8, v12
	v_mul_f16_sdwa v7, v38, v7 dst_sel:DWORD dst_unused:UNUSED_PAD src0_sel:WORD_1 src1_sel:DWORD
	v_cmp_ne_u32_e32 vcc, v8, v5
	v_fma_f16 v7, v38, v10, -v7
	v_cndmask_b32_e64 v5, 0, 1, vcc
	v_add_u32_e32 v8, 0xfffffc10, v6
	v_cvt_f32_f16_e32 v7, v7
	v_or_b32_e32 v5, v12, v5
	v_lshl_or_b32 v6, v8, 12, v1
	v_cmp_gt_i32_e32 vcc, 1, v8
	v_cndmask_b32_e32 v5, v6, v5, vcc
	v_and_b32_e32 v6, 7, v5
	v_cmp_lt_i32_e32 vcc, 5, v6
	v_cmp_eq_u32_e64 s[0:1], 3, v6
	v_lshrrev_b32_e32 v10, 2, v5
	v_cvt_f64_f32_e32 v[5:6], v7
	s_or_b64 vcc, s[0:1], vcc
	v_addc_co_u32_e32 v7, vcc, 0, v10, vcc
	v_mul_f64 v[5:6], v[5:6], s[2:3]
	v_cmp_gt_i32_e32 vcc, 31, v8
	v_cndmask_b32_e32 v7, v0, v7, vcc
	v_cmp_ne_u32_e32 vcc, 0, v1
	v_cndmask_b32_e64 v1, 0, 1, vcc
	v_lshl_or_b32 v1, v1, 9, v0
	v_cmp_eq_u32_e32 vcc, s10, v8
	v_cndmask_b32_e32 v1, v7, v1, vcc
	v_lshrrev_b32_e32 v2, 16, v2
	v_and_or_b32 v7, v2, s11, v1
	v_and_or_b32 v1, v6, s6, v5
	v_cmp_ne_u32_e32 vcc, 0, v1
	v_cndmask_b32_e64 v1, 0, 1, vcc
	v_lshrrev_b32_e32 v2, 8, v6
	v_bfe_u32 v5, v6, 20, 11
	v_and_or_b32 v1, v2, s7, v1
	v_sub_u32_e32 v8, 0x3f1, v5
	v_or_b32_e32 v2, 0x1000, v1
	v_med3_i32 v8, v8, 0, 13
	v_lshrrev_b32_e32 v10, v8, v2
	v_lshlrev_b32_e32 v8, v8, v10
	v_cmp_ne_u32_e32 vcc, v8, v2
	v_cndmask_b32_e64 v2, 0, 1, vcc
	v_add_u32_e32 v5, 0xfffffc10, v5
	v_or_b32_e32 v2, v10, v2
	v_lshl_or_b32 v8, v5, 12, v1
	v_cmp_gt_i32_e32 vcc, 1, v5
	v_cndmask_b32_e32 v2, v8, v2, vcc
	v_and_b32_e32 v8, 7, v2
	v_cmp_lt_i32_e32 vcc, 5, v8
	v_cmp_eq_u32_e64 s[0:1], 3, v8
	v_lshrrev_b32_e32 v8, 16, v9
	v_lshrrev_b32_e32 v2, 2, v2
	s_or_b64 vcc, s[0:1], vcc
	v_mul_f16_sdwa v10, v37, v8 dst_sel:DWORD dst_unused:UNUSED_PAD src0_sel:WORD_1 src1_sel:DWORD
	v_addc_co_u32_e32 v2, vcc, 0, v2, vcc
	v_fma_f16 v10, v37, v9, v10
	v_cmp_gt_i32_e32 vcc, 31, v5
	v_cvt_f32_f16_e32 v10, v10
	v_cndmask_b32_e32 v2, v0, v2, vcc
	v_cmp_ne_u32_e32 vcc, 0, v1
	v_cndmask_b32_e64 v1, 0, 1, vcc
	v_lshl_or_b32 v1, v1, 9, v0
	v_cmp_eq_u32_e32 vcc, s10, v5
	v_cndmask_b32_e32 v5, v2, v1, vcc
	v_cvt_f64_f32_e32 v[1:2], v10
	v_lshrrev_b32_e32 v6, 16, v6
	v_and_or_b32 v5, v6, s11, v5
	v_and_b32_e32 v6, 0xffff, v7
	v_mul_f64 v[1:2], v[1:2], s[2:3]
	v_lshl_or_b32 v5, v5, 16, v6
	v_mov_b32_e32 v6, s4
	v_add_co_u32_e32 v3, vcc, s5, v3
	v_addc_co_u32_e32 v4, vcc, v4, v6, vcc
	global_store_dword v[3:4], v5, off
	v_and_or_b32 v1, v2, s6, v1
	v_cmp_ne_u32_e32 vcc, 0, v1
	v_cndmask_b32_e64 v1, 0, 1, vcc
	v_lshrrev_b32_e32 v5, 8, v2
	v_bfe_u32 v6, v2, 20, 11
	v_and_or_b32 v1, v5, s7, v1
	v_sub_u32_e32 v7, 0x3f1, v6
	v_or_b32_e32 v5, 0x1000, v1
	v_med3_i32 v7, v7, 0, 13
	v_lshrrev_b32_e32 v10, v7, v5
	v_lshlrev_b32_e32 v7, v7, v10
	v_mul_f16_sdwa v9, v37, v9 dst_sel:DWORD dst_unused:UNUSED_PAD src0_sel:WORD_1 src1_sel:DWORD
	v_cmp_ne_u32_e32 vcc, v7, v5
	v_fma_f16 v8, v37, v8, -v9
	v_cndmask_b32_e64 v5, 0, 1, vcc
	v_add_u32_e32 v7, 0xfffffc10, v6
	v_cvt_f32_f16_e32 v8, v8
	v_or_b32_e32 v5, v10, v5
	v_lshl_or_b32 v6, v7, 12, v1
	v_cmp_gt_i32_e32 vcc, 1, v7
	v_cndmask_b32_e32 v5, v6, v5, vcc
	v_and_b32_e32 v6, 7, v5
	v_cmp_lt_i32_e32 vcc, 5, v6
	v_cmp_eq_u32_e64 s[0:1], 3, v6
	v_lshrrev_b32_e32 v9, 2, v5
	v_cvt_f64_f32_e32 v[5:6], v8
	s_or_b64 vcc, s[0:1], vcc
	v_addc_co_u32_e32 v8, vcc, 0, v9, vcc
	v_mul_f64 v[5:6], v[5:6], s[2:3]
	v_cmp_gt_i32_e32 vcc, 31, v7
	v_cndmask_b32_e32 v8, v0, v8, vcc
	v_cmp_ne_u32_e32 vcc, 0, v1
	v_cndmask_b32_e64 v1, 0, 1, vcc
	v_lshl_or_b32 v1, v1, 9, v0
	v_cmp_eq_u32_e32 vcc, s10, v7
	v_cndmask_b32_e32 v1, v8, v1, vcc
	v_lshrrev_b32_e32 v2, 16, v2
	v_and_or_b32 v7, v2, s11, v1
	v_and_or_b32 v1, v6, s6, v5
	v_cmp_ne_u32_e32 vcc, 0, v1
	v_cndmask_b32_e64 v1, 0, 1, vcc
	v_lshrrev_b32_e32 v2, 8, v6
	v_bfe_u32 v5, v6, 20, 11
	v_and_or_b32 v1, v2, s7, v1
	v_sub_u32_e32 v8, 0x3f1, v5
	v_or_b32_e32 v2, 0x1000, v1
	v_med3_i32 v8, v8, 0, 13
	v_lshrrev_b32_e32 v9, v8, v2
	v_lshlrev_b32_e32 v8, v8, v9
	v_cmp_ne_u32_e32 vcc, v8, v2
	v_cndmask_b32_e64 v2, 0, 1, vcc
	v_add_u32_e32 v5, 0xfffffc10, v5
	v_or_b32_e32 v2, v9, v2
	v_lshl_or_b32 v8, v5, 12, v1
	v_cmp_gt_i32_e32 vcc, 1, v5
	v_cndmask_b32_e32 v2, v8, v2, vcc
	v_and_b32_e32 v8, 7, v2
	v_cmp_lt_i32_e32 vcc, 5, v8
	v_cmp_eq_u32_e64 s[0:1], 3, v8
	v_lshrrev_b32_e32 v8, 16, v11
	v_lshrrev_b32_e32 v2, 2, v2
	s_or_b64 vcc, s[0:1], vcc
	v_mul_f16_sdwa v9, v36, v8 dst_sel:DWORD dst_unused:UNUSED_PAD src0_sel:WORD_1 src1_sel:DWORD
	v_addc_co_u32_e32 v2, vcc, 0, v2, vcc
	v_fma_f16 v9, v36, v11, v9
	v_cmp_gt_i32_e32 vcc, 31, v5
	v_cvt_f32_f16_e32 v9, v9
	v_cndmask_b32_e32 v2, v0, v2, vcc
	v_cmp_ne_u32_e32 vcc, 0, v1
	v_cndmask_b32_e64 v1, 0, 1, vcc
	v_lshl_or_b32 v1, v1, 9, v0
	v_cmp_eq_u32_e32 vcc, s10, v5
	v_cndmask_b32_e32 v5, v2, v1, vcc
	v_cvt_f64_f32_e32 v[1:2], v9
	v_lshrrev_b32_e32 v6, 16, v6
	v_and_or_b32 v5, v6, s11, v5
	v_and_b32_e32 v6, 0xffff, v7
	v_mul_f64 v[1:2], v[1:2], s[2:3]
	v_lshl_or_b32 v5, v5, 16, v6
	v_mov_b32_e32 v6, s4
	v_add_co_u32_e32 v3, vcc, s5, v3
	v_addc_co_u32_e32 v4, vcc, v4, v6, vcc
	global_store_dword v[3:4], v5, off
	v_and_or_b32 v1, v2, s6, v1
	v_cmp_ne_u32_e32 vcc, 0, v1
	v_cndmask_b32_e64 v1, 0, 1, vcc
	v_lshrrev_b32_e32 v5, 8, v2
	v_bfe_u32 v6, v2, 20, 11
	v_and_or_b32 v1, v5, s7, v1
	v_sub_u32_e32 v7, 0x3f1, v6
	v_or_b32_e32 v5, 0x1000, v1
	v_med3_i32 v7, v7, 0, 13
	v_lshrrev_b32_e32 v9, v7, v5
	v_lshlrev_b32_e32 v7, v7, v9
	v_cmp_ne_u32_e32 vcc, v7, v5
	v_cndmask_b32_e64 v5, 0, 1, vcc
	v_or_b32_e32 v5, v9, v5
	v_mul_f16_sdwa v9, v36, v11 dst_sel:DWORD dst_unused:UNUSED_PAD src0_sel:WORD_1 src1_sel:DWORD
	v_fma_f16 v8, v36, v8, -v9
	v_add_u32_e32 v7, 0xfffffc10, v6
	v_cvt_f32_f16_e32 v8, v8
	v_lshl_or_b32 v6, v7, 12, v1
	v_cmp_gt_i32_e32 vcc, 1, v7
	v_cndmask_b32_e32 v5, v6, v5, vcc
	v_and_b32_e32 v6, 7, v5
	v_cmp_lt_i32_e32 vcc, 5, v6
	v_cmp_eq_u32_e64 s[0:1], 3, v6
	v_lshrrev_b32_e32 v9, 2, v5
	v_cvt_f64_f32_e32 v[5:6], v8
	s_or_b64 vcc, s[0:1], vcc
	v_addc_co_u32_e32 v8, vcc, 0, v9, vcc
	v_mul_f64 v[5:6], v[5:6], s[2:3]
	v_cmp_gt_i32_e32 vcc, 31, v7
	v_cndmask_b32_e32 v8, v0, v8, vcc
	v_cmp_ne_u32_e32 vcc, 0, v1
	v_cndmask_b32_e64 v1, 0, 1, vcc
	v_lshl_or_b32 v1, v1, 9, v0
	v_cmp_eq_u32_e32 vcc, s10, v7
	v_cndmask_b32_e32 v1, v8, v1, vcc
	v_lshrrev_b32_e32 v2, 16, v2
	v_and_or_b32 v1, v2, s11, v1
	v_and_or_b32 v2, v6, s6, v5
	v_cmp_ne_u32_e32 vcc, 0, v2
	v_cndmask_b32_e64 v2, 0, 1, vcc
	v_lshrrev_b32_e32 v5, 8, v6
	v_bfe_u32 v7, v6, 20, 11
	v_and_or_b32 v2, v5, s7, v2
	v_sub_u32_e32 v8, 0x3f1, v7
	v_or_b32_e32 v5, 0x1000, v2
	v_med3_i32 v8, v8, 0, 13
	v_lshrrev_b32_e32 v9, v8, v5
	v_lshlrev_b32_e32 v8, v8, v9
	v_cmp_ne_u32_e32 vcc, v8, v5
	v_cndmask_b32_e64 v5, 0, 1, vcc
	v_add_u32_e32 v7, 0xfffffc10, v7
	v_or_b32_e32 v5, v9, v5
	v_lshl_or_b32 v8, v7, 12, v2
	v_cmp_gt_i32_e32 vcc, 1, v7
	v_cndmask_b32_e32 v5, v8, v5, vcc
	v_and_b32_e32 v8, 7, v5
	v_cmp_lt_i32_e32 vcc, 5, v8
	v_cmp_eq_u32_e64 s[0:1], 3, v8
	v_lshrrev_b32_e32 v5, 2, v5
	s_or_b64 vcc, s[0:1], vcc
	v_addc_co_u32_e32 v5, vcc, 0, v5, vcc
	v_cmp_gt_i32_e32 vcc, 31, v7
	v_cndmask_b32_e32 v5, v0, v5, vcc
	v_cmp_ne_u32_e32 vcc, 0, v2
	v_cndmask_b32_e64 v2, 0, 1, vcc
	v_lshl_or_b32 v0, v2, 9, v0
	v_cmp_eq_u32_e32 vcc, s10, v7
	v_cndmask_b32_e32 v0, v5, v0, vcc
	v_lshrrev_b32_e32 v2, 16, v6
	v_and_or_b32 v0, v2, s11, v0
	v_and_b32_e32 v1, 0xffff, v1
	v_lshl_or_b32 v2, v0, 16, v1
	v_mov_b32_e32 v1, s4
	v_add_co_u32_e32 v0, vcc, s5, v3
	v_addc_co_u32_e32 v1, vcc, v4, v1, vcc
	global_store_dword v[0:1], v2, off
.LBB0_2:
	s_endpgm
	.section	.rodata,"a",@progbits
	.p2align	6, 0x0
	.amdhsa_kernel bluestein_single_fwd_len2304_dim1_half_op_CI_CI
		.amdhsa_group_segment_fixed_size 9216
		.amdhsa_private_segment_fixed_size 0
		.amdhsa_kernarg_size 104
		.amdhsa_user_sgpr_count 6
		.amdhsa_user_sgpr_private_segment_buffer 1
		.amdhsa_user_sgpr_dispatch_ptr 0
		.amdhsa_user_sgpr_queue_ptr 0
		.amdhsa_user_sgpr_kernarg_segment_ptr 1
		.amdhsa_user_sgpr_dispatch_id 0
		.amdhsa_user_sgpr_flat_scratch_init 0
		.amdhsa_user_sgpr_private_segment_size 0
		.amdhsa_uses_dynamic_stack 0
		.amdhsa_system_sgpr_private_segment_wavefront_offset 0
		.amdhsa_system_sgpr_workgroup_id_x 1
		.amdhsa_system_sgpr_workgroup_id_y 0
		.amdhsa_system_sgpr_workgroup_id_z 0
		.amdhsa_system_sgpr_workgroup_info 0
		.amdhsa_system_vgpr_workitem_id 0
		.amdhsa_next_free_vgpr 91
		.amdhsa_next_free_sgpr 20
		.amdhsa_reserve_vcc 1
		.amdhsa_reserve_flat_scratch 0
		.amdhsa_float_round_mode_32 0
		.amdhsa_float_round_mode_16_64 0
		.amdhsa_float_denorm_mode_32 3
		.amdhsa_float_denorm_mode_16_64 3
		.amdhsa_dx10_clamp 1
		.amdhsa_ieee_mode 1
		.amdhsa_fp16_overflow 0
		.amdhsa_exception_fp_ieee_invalid_op 0
		.amdhsa_exception_fp_denorm_src 0
		.amdhsa_exception_fp_ieee_div_zero 0
		.amdhsa_exception_fp_ieee_overflow 0
		.amdhsa_exception_fp_ieee_underflow 0
		.amdhsa_exception_fp_ieee_inexact 0
		.amdhsa_exception_int_div_zero 0
	.end_amdhsa_kernel
	.text
.Lfunc_end0:
	.size	bluestein_single_fwd_len2304_dim1_half_op_CI_CI, .Lfunc_end0-bluestein_single_fwd_len2304_dim1_half_op_CI_CI
                                        ; -- End function
	.section	.AMDGPU.csdata,"",@progbits
; Kernel info:
; codeLenInByte = 17600
; NumSgprs: 24
; NumVgprs: 91
; ScratchSize: 0
; MemoryBound: 0
; FloatMode: 240
; IeeeMode: 1
; LDSByteSize: 9216 bytes/workgroup (compile time only)
; SGPRBlocks: 2
; VGPRBlocks: 22
; NumSGPRsForWavesPerEU: 24
; NumVGPRsForWavesPerEU: 91
; Occupancy: 2
; WaveLimiterHint : 1
; COMPUTE_PGM_RSRC2:SCRATCH_EN: 0
; COMPUTE_PGM_RSRC2:USER_SGPR: 6
; COMPUTE_PGM_RSRC2:TRAP_HANDLER: 0
; COMPUTE_PGM_RSRC2:TGID_X_EN: 1
; COMPUTE_PGM_RSRC2:TGID_Y_EN: 0
; COMPUTE_PGM_RSRC2:TGID_Z_EN: 0
; COMPUTE_PGM_RSRC2:TIDIG_COMP_CNT: 0
	.type	__hip_cuid_b9bdeeb036304d6c,@object ; @__hip_cuid_b9bdeeb036304d6c
	.section	.bss,"aw",@nobits
	.globl	__hip_cuid_b9bdeeb036304d6c
__hip_cuid_b9bdeeb036304d6c:
	.byte	0                               ; 0x0
	.size	__hip_cuid_b9bdeeb036304d6c, 1

	.ident	"AMD clang version 19.0.0git (https://github.com/RadeonOpenCompute/llvm-project roc-6.4.0 25133 c7fe45cf4b819c5991fe208aaa96edf142730f1d)"
	.section	".note.GNU-stack","",@progbits
	.addrsig
	.addrsig_sym __hip_cuid_b9bdeeb036304d6c
	.amdgpu_metadata
---
amdhsa.kernels:
  - .args:
      - .actual_access:  read_only
        .address_space:  global
        .offset:         0
        .size:           8
        .value_kind:     global_buffer
      - .actual_access:  read_only
        .address_space:  global
        .offset:         8
        .size:           8
        .value_kind:     global_buffer
      - .actual_access:  read_only
        .address_space:  global
        .offset:         16
        .size:           8
        .value_kind:     global_buffer
      - .actual_access:  read_only
        .address_space:  global
        .offset:         24
        .size:           8
        .value_kind:     global_buffer
      - .actual_access:  read_only
        .address_space:  global
        .offset:         32
        .size:           8
        .value_kind:     global_buffer
      - .offset:         40
        .size:           8
        .value_kind:     by_value
      - .address_space:  global
        .offset:         48
        .size:           8
        .value_kind:     global_buffer
      - .address_space:  global
        .offset:         56
        .size:           8
        .value_kind:     global_buffer
      - .address_space:  global
        .offset:         64
        .size:           8
        .value_kind:     global_buffer
      - .address_space:  global
        .offset:         72
        .size:           8
        .value_kind:     global_buffer
      - .offset:         80
        .size:           4
        .value_kind:     by_value
      - .address_space:  global
        .offset:         88
        .size:           8
        .value_kind:     global_buffer
      - .address_space:  global
        .offset:         96
        .size:           8
        .value_kind:     global_buffer
    .group_segment_fixed_size: 9216
    .kernarg_segment_align: 8
    .kernarg_segment_size: 104
    .language:       OpenCL C
    .language_version:
      - 2
      - 0
    .max_flat_workgroup_size: 192
    .name:           bluestein_single_fwd_len2304_dim1_half_op_CI_CI
    .private_segment_fixed_size: 0
    .sgpr_count:     24
    .sgpr_spill_count: 0
    .symbol:         bluestein_single_fwd_len2304_dim1_half_op_CI_CI.kd
    .uniform_work_group_size: 1
    .uses_dynamic_stack: false
    .vgpr_count:     91
    .vgpr_spill_count: 0
    .wavefront_size: 64
amdhsa.target:   amdgcn-amd-amdhsa--gfx906
amdhsa.version:
  - 1
  - 2
...

	.end_amdgpu_metadata
